;; amdgpu-corpus repo=amd/amd-lab-notes kind=compiled arch=gfx1100 opt=O3
	.text
	.amdgcn_target "amdgcn-amd-amdhsa--gfx1100"
	.amdhsa_code_object_version 6
	.protected	_Z27computeMaxNnzPerRowPerBlockiiPKiPjPiS2_ ; -- Begin function _Z27computeMaxNnzPerRowPerBlockiiPKiPjPiS2_
	.globl	_Z27computeMaxNnzPerRowPerBlockiiPKiPjPiS2_
	.p2align	8
	.type	_Z27computeMaxNnzPerRowPerBlockiiPKiPjPiS2_,@function
_Z27computeMaxNnzPerRowPerBlockiiPKiPjPiS2_: ; @_Z27computeMaxNnzPerRowPerBlockiiPKiPjPiS2_
; %bb.0:
	s_clause 0x1
	s_load_b32 s4, s[0:1], 0x34
	s_load_b64 s[2:3], s[0:1], 0x0
	s_waitcnt lgkmcnt(0)
	s_and_b32 s5, s4, 0xffff
	s_bfe_u32 s4, s4, 0xb0005
	v_mad_u64_u32 v[3:4], null, s15, s5, v[0:1]
	v_lshrrev_b32_e32 v4, 5, v0
	s_delay_alu instid0(VALU_DEP_1) | instskip(NEXT) | instid1(VALU_DEP_3)
	v_mad_u64_u32 v[1:2], null, s4, s15, v[4:5]
	v_cmp_gt_i32_e32 vcc_lo, s2, v3
	v_mov_b32_e32 v2, 0
	s_and_saveexec_b32 s2, vcc_lo
	s_cbranch_execz .LBB0_2
; %bb.1:
	s_clause 0x1
	s_load_b64 s[8:9], s[0:1], 0x8
	s_load_b128 s[4:7], s[0:1], 0x18
	v_ashrrev_i32_e32 v4, 31, v3
	s_delay_alu instid0(VALU_DEP_1) | instskip(SKIP_1) | instid1(VALU_DEP_1)
	v_lshlrev_b64 v[5:6], 2, v[3:4]
	v_lshrrev_b32_e32 v2, 27, v4
	v_add_nc_u32_e32 v2, v3, v2
	s_delay_alu instid0(VALU_DEP_1) | instskip(SKIP_1) | instid1(VALU_DEP_4)
	v_and_b32_e32 v2, 0xffffffe0, v2
	s_waitcnt lgkmcnt(0)
	v_add_co_u32 v7, vcc_lo, s8, v5
	v_add_co_ci_u32_e32 v8, vcc_lo, s9, v6, vcc_lo
	v_add_co_u32 v9, vcc_lo, s4, v5
	v_add_co_ci_u32_e32 v10, vcc_lo, s5, v6, vcc_lo
	global_load_b64 v[7:8], v[7:8], off
	v_sub_nc_u32_e32 v11, v3, v2
	v_add_co_u32 v3, vcc_lo, s6, v5
	v_add_co_ci_u32_e32 v4, vcc_lo, s7, v6, vcc_lo
	global_store_b32 v[9:10], v1, off
	global_store_b32 v[3:4], v11, off
	s_waitcnt vmcnt(0)
	v_sub_nc_u32_e32 v2, v8, v7
.LBB0_2:
	s_or_b32 exec_lo, exec_lo, s2
	v_mbcnt_lo_u32_b32 v3, -1, 0
	v_and_b32_e32 v0, 31, v0
	s_delay_alu instid0(VALU_DEP_2) | instskip(NEXT) | instid1(VALU_DEP_2)
	v_cmp_gt_u32_e32 vcc_lo, 16, v3
	v_cmp_eq_u32_e64 s2, 0, v0
	v_cndmask_b32_e64 v4, 0, 1, vcc_lo
	v_cmp_gt_u32_e32 vcc_lo, 24, v3
	s_delay_alu instid0(VALU_DEP_2) | instskip(SKIP_2) | instid1(VALU_DEP_3)
	v_lshlrev_b32_e32 v4, 4, v4
	v_cndmask_b32_e64 v5, 0, 1, vcc_lo
	v_cmp_gt_u32_e32 vcc_lo, 28, v3
	v_add_lshl_u32 v4, v4, v3, 2
	s_delay_alu instid0(VALU_DEP_3)
	v_lshlrev_b32_e32 v5, 3, v5
	ds_bpermute_b32 v4, v4, v2
	v_add_lshl_u32 v5, v5, v3, 2
	s_waitcnt lgkmcnt(0)
	v_max_i32_e32 v2, v4, v2
	ds_bpermute_b32 v4, v5, v2
	v_cndmask_b32_e64 v5, 0, 1, vcc_lo
	v_cmp_gt_u32_e32 vcc_lo, 30, v3
	s_delay_alu instid0(VALU_DEP_2) | instskip(NEXT) | instid1(VALU_DEP_1)
	v_lshlrev_b32_e32 v5, 2, v5
	v_add_lshl_u32 v5, v5, v3, 2
	s_waitcnt lgkmcnt(0)
	v_max_i32_e32 v2, v4, v2
	ds_bpermute_b32 v4, v5, v2
	v_cndmask_b32_e64 v5, 0, 1, vcc_lo
	v_cmp_ne_u32_e32 vcc_lo, 31, v3
	s_delay_alu instid0(VALU_DEP_2) | instskip(NEXT) | instid1(VALU_DEP_1)
	v_lshlrev_b32_e32 v5, 1, v5
	v_add_lshl_u32 v5, v5, v3, 2
	s_waitcnt lgkmcnt(0)
	v_max_i32_e32 v2, v4, v2
	ds_bpermute_b32 v4, v5, v2
	v_add_co_ci_u32_e32 v5, vcc_lo, 0, v3, vcc_lo
	v_cmp_gt_i32_e32 vcc_lo, s3, v1
	s_and_b32 s2, s2, vcc_lo
	s_waitcnt lgkmcnt(0)
	v_max_i32_e32 v3, v4, v2
	v_lshlrev_b32_e32 v2, 2, v5
	ds_bpermute_b32 v4, v2, v3
	s_and_saveexec_b32 s3, s2
	s_cbranch_execz .LBB0_4
; %bb.3:
	s_load_b64 s[0:1], s[0:1], 0x10
	v_ashrrev_i32_e32 v2, 31, v1
	s_delay_alu instid0(VALU_DEP_1) | instskip(SKIP_2) | instid1(VALU_DEP_2)
	v_lshlrev_b64 v[0:1], 2, v[1:2]
	s_waitcnt lgkmcnt(0)
	v_max_i32_e32 v2, v4, v3
	v_add_co_u32 v0, vcc_lo, s0, v0
	s_delay_alu instid0(VALU_DEP_3)
	v_add_co_ci_u32_e32 v1, vcc_lo, s1, v1, vcc_lo
	global_store_b32 v[0:1], v2, off
.LBB0_4:
	s_nop 0
	s_sendmsg sendmsg(MSG_DEALLOC_VGPRS)
	s_endpgm
	.section	.rodata,"a",@progbits
	.p2align	6, 0x0
	.amdhsa_kernel _Z27computeMaxNnzPerRowPerBlockiiPKiPjPiS2_
		.amdhsa_group_segment_fixed_size 0
		.amdhsa_private_segment_fixed_size 0
		.amdhsa_kernarg_size 296
		.amdhsa_user_sgpr_count 15
		.amdhsa_user_sgpr_dispatch_ptr 0
		.amdhsa_user_sgpr_queue_ptr 0
		.amdhsa_user_sgpr_kernarg_segment_ptr 1
		.amdhsa_user_sgpr_dispatch_id 0
		.amdhsa_user_sgpr_private_segment_size 0
		.amdhsa_wavefront_size32 1
		.amdhsa_uses_dynamic_stack 0
		.amdhsa_enable_private_segment 0
		.amdhsa_system_sgpr_workgroup_id_x 1
		.amdhsa_system_sgpr_workgroup_id_y 0
		.amdhsa_system_sgpr_workgroup_id_z 0
		.amdhsa_system_sgpr_workgroup_info 0
		.amdhsa_system_vgpr_workitem_id 0
		.amdhsa_next_free_vgpr 12
		.amdhsa_next_free_sgpr 16
		.amdhsa_reserve_vcc 1
		.amdhsa_float_round_mode_32 0
		.amdhsa_float_round_mode_16_64 0
		.amdhsa_float_denorm_mode_32 3
		.amdhsa_float_denorm_mode_16_64 3
		.amdhsa_dx10_clamp 1
		.amdhsa_ieee_mode 1
		.amdhsa_fp16_overflow 0
		.amdhsa_workgroup_processor_mode 1
		.amdhsa_memory_ordered 1
		.amdhsa_forward_progress 0
		.amdhsa_shared_vgpr_count 0
		.amdhsa_exception_fp_ieee_invalid_op 0
		.amdhsa_exception_fp_denorm_src 0
		.amdhsa_exception_fp_ieee_div_zero 0
		.amdhsa_exception_fp_ieee_overflow 0
		.amdhsa_exception_fp_ieee_underflow 0
		.amdhsa_exception_fp_ieee_inexact 0
		.amdhsa_exception_int_div_zero 0
	.end_amdhsa_kernel
	.text
.Lfunc_end0:
	.size	_Z27computeMaxNnzPerRowPerBlockiiPKiPjPiS2_, .Lfunc_end0-_Z27computeMaxNnzPerRowPerBlockiiPKiPjPiS2_
                                        ; -- End function
	.section	.AMDGPU.csdata,"",@progbits
; Kernel info:
; codeLenInByte = 520
; NumSgprs: 18
; NumVgprs: 12
; ScratchSize: 0
; MemoryBound: 0
; FloatMode: 240
; IeeeMode: 1
; LDSByteSize: 0 bytes/workgroup (compile time only)
; SGPRBlocks: 2
; VGPRBlocks: 1
; NumSGPRsForWavesPerEU: 18
; NumVGPRsForWavesPerEU: 12
; Occupancy: 16
; WaveLimiterHint : 0
; COMPUTE_PGM_RSRC2:SCRATCH_EN: 0
; COMPUTE_PGM_RSRC2:USER_SGPR: 15
; COMPUTE_PGM_RSRC2:TRAP_HANDLER: 0
; COMPUTE_PGM_RSRC2:TGID_X_EN: 1
; COMPUTE_PGM_RSRC2:TGID_Y_EN: 0
; COMPUTE_PGM_RSRC2:TGID_Z_EN: 0
; COMPUTE_PGM_RSRC2:TIDIG_COMP_CNT: 0
	.section	.text._ZN7rocprim6detail31init_lookback_scan_state_kernelINS0_19lookback_scan_stateIjLb1ELb1EEEEEvT_jjPNS4_10value_typeE,"axG",@progbits,_ZN7rocprim6detail31init_lookback_scan_state_kernelINS0_19lookback_scan_stateIjLb1ELb1EEEEEvT_jjPNS4_10value_typeE,comdat
	.protected	_ZN7rocprim6detail31init_lookback_scan_state_kernelINS0_19lookback_scan_stateIjLb1ELb1EEEEEvT_jjPNS4_10value_typeE ; -- Begin function _ZN7rocprim6detail31init_lookback_scan_state_kernelINS0_19lookback_scan_stateIjLb1ELb1EEEEEvT_jjPNS4_10value_typeE
	.globl	_ZN7rocprim6detail31init_lookback_scan_state_kernelINS0_19lookback_scan_stateIjLb1ELb1EEEEEvT_jjPNS4_10value_typeE
	.p2align	8
	.type	_ZN7rocprim6detail31init_lookback_scan_state_kernelINS0_19lookback_scan_stateIjLb1ELb1EEEEEvT_jjPNS4_10value_typeE,@function
_ZN7rocprim6detail31init_lookback_scan_state_kernelINS0_19lookback_scan_stateIjLb1ELb1EEEEEvT_jjPNS4_10value_typeE: ; @_ZN7rocprim6detail31init_lookback_scan_state_kernelINS0_19lookback_scan_stateIjLb1ELb1EEEEEvT_jjPNS4_10value_typeE
; %bb.0:
	s_clause 0x2
	s_load_b32 s6, s[0:1], 0x24
	s_load_b64 s[4:5], s[0:1], 0x10
	s_load_b128 s[0:3], s[0:1], 0x0
	s_waitcnt lgkmcnt(0)
	s_and_b32 s6, s6, 0xffff
	s_cmp_eq_u64 s[4:5], 0
	v_mad_u64_u32 v[1:2], null, s15, s6, v[0:1]
	s_cbranch_scc1 .LBB1_9
; %bb.1:
	s_cmp_lt_u32 s3, s2
	s_mov_b32 s7, 0
	s_cselect_b32 s6, s3, 0
	s_mov_b32 s8, exec_lo
	s_delay_alu instid0(VALU_DEP_1)
	v_cmpx_eq_u32_e64 s6, v1
	s_cbranch_execz .LBB1_8
; %bb.2:
	s_add_i32 s6, s3, 32
	v_mov_b32_e32 v2, 0
	s_lshl_b64 s[6:7], s[6:7], 3
	s_delay_alu instid0(SALU_CYCLE_1) | instskip(SKIP_4) | instid1(VALU_DEP_1)
	s_add_u32 s6, s0, s6
	s_addc_u32 s7, s1, s7
	global_load_b64 v[4:5], v2, s[6:7] glc
	s_waitcnt vmcnt(0)
	v_and_b32_e32 v3, 0xff, v5
	v_cmp_ne_u64_e32 vcc_lo, 0, v[2:3]
	s_cbranch_vccnz .LBB1_7
; %bb.3:
	s_mov_b32 s3, 1
.LBB1_4:                                ; =>This Loop Header: Depth=1
                                        ;     Child Loop BB1_5 Depth 2
	s_delay_alu instid0(SALU_CYCLE_1)
	s_max_u32 s9, s3, 1
.LBB1_5:                                ;   Parent Loop BB1_4 Depth=1
                                        ; =>  This Inner Loop Header: Depth=2
	s_delay_alu instid0(SALU_CYCLE_1)
	s_add_i32 s9, s9, -1
	s_sleep 1
	s_cmp_eq_u32 s9, 0
	s_cbranch_scc0 .LBB1_5
; %bb.6:                                ;   in Loop: Header=BB1_4 Depth=1
	global_load_b64 v[4:5], v2, s[6:7] glc
	s_cmp_lt_u32 s3, 32
	s_cselect_b32 s9, -1, 0
	s_delay_alu instid0(SALU_CYCLE_1) | instskip(SKIP_3) | instid1(VALU_DEP_1)
	s_cmp_lg_u32 s9, 0
	s_addc_u32 s3, s3, 0
	s_waitcnt vmcnt(0)
	v_and_b32_e32 v3, 0xff, v5
	v_cmp_ne_u64_e32 vcc_lo, 0, v[2:3]
	s_cbranch_vccz .LBB1_4
.LBB1_7:
	v_mov_b32_e32 v0, 0
	global_store_b32 v0, v4, s[4:5]
.LBB1_8:
	s_or_b32 exec_lo, exec_lo, s8
.LBB1_9:
	s_delay_alu instid0(VALU_DEP_1)
	v_cmp_gt_u32_e32 vcc_lo, s2, v1
	s_and_saveexec_b32 s2, vcc_lo
	s_cbranch_execz .LBB1_11
; %bb.10:
	v_dual_mov_b32 v3, 0 :: v_dual_add_nc_u32 v2, 32, v1
	s_delay_alu instid0(VALU_DEP_1) | instskip(SKIP_1) | instid1(VALU_DEP_2)
	v_lshlrev_b64 v[4:5], 3, v[2:3]
	v_mov_b32_e32 v2, v3
	v_add_co_u32 v4, vcc_lo, s0, v4
	s_delay_alu instid0(VALU_DEP_3)
	v_add_co_ci_u32_e32 v5, vcc_lo, s1, v5, vcc_lo
	global_store_b64 v[4:5], v[2:3], off
.LBB1_11:
	s_or_b32 exec_lo, exec_lo, s2
	s_delay_alu instid0(SALU_CYCLE_1)
	s_mov_b32 s2, exec_lo
	v_cmpx_gt_u32_e32 32, v1
	s_cbranch_execz .LBB1_13
; %bb.12:
	v_dual_mov_b32 v2, 0 :: v_dual_mov_b32 v3, 0xff
	s_delay_alu instid0(VALU_DEP_1) | instskip(NEXT) | instid1(VALU_DEP_1)
	v_lshlrev_b64 v[0:1], 3, v[1:2]
	v_add_co_u32 v0, vcc_lo, s0, v0
	s_delay_alu instid0(VALU_DEP_2)
	v_add_co_ci_u32_e32 v1, vcc_lo, s1, v1, vcc_lo
	global_store_b64 v[0:1], v[2:3], off
.LBB1_13:
	s_nop 0
	s_sendmsg sendmsg(MSG_DEALLOC_VGPRS)
	s_endpgm
	.section	.rodata,"a",@progbits
	.p2align	6, 0x0
	.amdhsa_kernel _ZN7rocprim6detail31init_lookback_scan_state_kernelINS0_19lookback_scan_stateIjLb1ELb1EEEEEvT_jjPNS4_10value_typeE
		.amdhsa_group_segment_fixed_size 0
		.amdhsa_private_segment_fixed_size 0
		.amdhsa_kernarg_size 280
		.amdhsa_user_sgpr_count 15
		.amdhsa_user_sgpr_dispatch_ptr 0
		.amdhsa_user_sgpr_queue_ptr 0
		.amdhsa_user_sgpr_kernarg_segment_ptr 1
		.amdhsa_user_sgpr_dispatch_id 0
		.amdhsa_user_sgpr_private_segment_size 0
		.amdhsa_wavefront_size32 1
		.amdhsa_uses_dynamic_stack 0
		.amdhsa_enable_private_segment 0
		.amdhsa_system_sgpr_workgroup_id_x 1
		.amdhsa_system_sgpr_workgroup_id_y 0
		.amdhsa_system_sgpr_workgroup_id_z 0
		.amdhsa_system_sgpr_workgroup_info 0
		.amdhsa_system_vgpr_workitem_id 0
		.amdhsa_next_free_vgpr 6
		.amdhsa_next_free_sgpr 16
		.amdhsa_reserve_vcc 1
		.amdhsa_float_round_mode_32 0
		.amdhsa_float_round_mode_16_64 0
		.amdhsa_float_denorm_mode_32 3
		.amdhsa_float_denorm_mode_16_64 3
		.amdhsa_dx10_clamp 1
		.amdhsa_ieee_mode 1
		.amdhsa_fp16_overflow 0
		.amdhsa_workgroup_processor_mode 1
		.amdhsa_memory_ordered 1
		.amdhsa_forward_progress 0
		.amdhsa_shared_vgpr_count 0
		.amdhsa_exception_fp_ieee_invalid_op 0
		.amdhsa_exception_fp_denorm_src 0
		.amdhsa_exception_fp_ieee_div_zero 0
		.amdhsa_exception_fp_ieee_overflow 0
		.amdhsa_exception_fp_ieee_underflow 0
		.amdhsa_exception_fp_ieee_inexact 0
		.amdhsa_exception_int_div_zero 0
	.end_amdhsa_kernel
	.section	.text._ZN7rocprim6detail31init_lookback_scan_state_kernelINS0_19lookback_scan_stateIjLb1ELb1EEEEEvT_jjPNS4_10value_typeE,"axG",@progbits,_ZN7rocprim6detail31init_lookback_scan_state_kernelINS0_19lookback_scan_stateIjLb1ELb1EEEEEvT_jjPNS4_10value_typeE,comdat
.Lfunc_end1:
	.size	_ZN7rocprim6detail31init_lookback_scan_state_kernelINS0_19lookback_scan_stateIjLb1ELb1EEEEEvT_jjPNS4_10value_typeE, .Lfunc_end1-_ZN7rocprim6detail31init_lookback_scan_state_kernelINS0_19lookback_scan_stateIjLb1ELb1EEEEEvT_jjPNS4_10value_typeE
                                        ; -- End function
	.section	.AMDGPU.csdata,"",@progbits
; Kernel info:
; codeLenInByte = 380
; NumSgprs: 18
; NumVgprs: 6
; ScratchSize: 0
; MemoryBound: 0
; FloatMode: 240
; IeeeMode: 1
; LDSByteSize: 0 bytes/workgroup (compile time only)
; SGPRBlocks: 2
; VGPRBlocks: 0
; NumSGPRsForWavesPerEU: 18
; NumVGPRsForWavesPerEU: 6
; Occupancy: 16
; WaveLimiterHint : 0
; COMPUTE_PGM_RSRC2:SCRATCH_EN: 0
; COMPUTE_PGM_RSRC2:USER_SGPR: 15
; COMPUTE_PGM_RSRC2:TRAP_HANDLER: 0
; COMPUTE_PGM_RSRC2:TGID_X_EN: 1
; COMPUTE_PGM_RSRC2:TGID_Y_EN: 0
; COMPUTE_PGM_RSRC2:TGID_Z_EN: 0
; COMPUTE_PGM_RSRC2:TIDIG_COMP_CNT: 0
	.section	.text._ZN7rocprim6detail31init_lookback_scan_state_kernelINS0_19lookback_scan_stateIjLb0ELb1EEEEEvT_jjPNS4_10value_typeE,"axG",@progbits,_ZN7rocprim6detail31init_lookback_scan_state_kernelINS0_19lookback_scan_stateIjLb0ELb1EEEEEvT_jjPNS4_10value_typeE,comdat
	.protected	_ZN7rocprim6detail31init_lookback_scan_state_kernelINS0_19lookback_scan_stateIjLb0ELb1EEEEEvT_jjPNS4_10value_typeE ; -- Begin function _ZN7rocprim6detail31init_lookback_scan_state_kernelINS0_19lookback_scan_stateIjLb0ELb1EEEEEvT_jjPNS4_10value_typeE
	.globl	_ZN7rocprim6detail31init_lookback_scan_state_kernelINS0_19lookback_scan_stateIjLb0ELb1EEEEEvT_jjPNS4_10value_typeE
	.p2align	8
	.type	_ZN7rocprim6detail31init_lookback_scan_state_kernelINS0_19lookback_scan_stateIjLb0ELb1EEEEEvT_jjPNS4_10value_typeE,@function
_ZN7rocprim6detail31init_lookback_scan_state_kernelINS0_19lookback_scan_stateIjLb0ELb1EEEEEvT_jjPNS4_10value_typeE: ; @_ZN7rocprim6detail31init_lookback_scan_state_kernelINS0_19lookback_scan_stateIjLb0ELb1EEEEEvT_jjPNS4_10value_typeE
; %bb.0:
	s_clause 0x2
	s_load_b32 s6, s[0:1], 0x24
	s_load_b64 s[4:5], s[0:1], 0x10
	s_load_b128 s[0:3], s[0:1], 0x0
	s_waitcnt lgkmcnt(0)
	s_and_b32 s6, s6, 0xffff
	s_cmp_eq_u64 s[4:5], 0
	v_mad_u64_u32 v[1:2], null, s15, s6, v[0:1]
	s_cbranch_scc1 .LBB2_6
; %bb.1:
	s_cmp_lt_u32 s3, s2
	s_mov_b32 s7, 0
	s_cselect_b32 s6, s3, 0
	s_mov_b32 s8, exec_lo
	s_delay_alu instid0(VALU_DEP_1)
	v_cmpx_eq_u32_e64 s6, v1
	s_cbranch_execz .LBB2_5
; %bb.2:
	s_add_i32 s6, s3, 32
	v_mov_b32_e32 v4, 0
	s_lshl_b64 s[6:7], s[6:7], 3
	s_delay_alu instid0(SALU_CYCLE_1) | instskip(SKIP_4) | instid1(VALU_DEP_1)
	s_add_u32 s6, s0, s6
	s_addc_u32 s7, s1, s7
	global_load_b64 v[2:3], v4, s[6:7] glc
	s_waitcnt vmcnt(0)
	v_and_b32_e32 v5, 0xff, v3
	v_cmp_ne_u64_e32 vcc_lo, 0, v[4:5]
	s_cbranch_vccnz .LBB2_4
.LBB2_3:                                ; =>This Inner Loop Header: Depth=1
	global_load_b64 v[2:3], v4, s[6:7] glc
	s_waitcnt vmcnt(0)
	v_and_b32_e32 v5, 0xff, v3
	s_delay_alu instid0(VALU_DEP_1)
	v_cmp_eq_u64_e32 vcc_lo, 0, v[4:5]
	s_cbranch_vccnz .LBB2_3
.LBB2_4:
	v_mov_b32_e32 v0, 0
	global_store_b32 v0, v2, s[4:5]
.LBB2_5:
	s_or_b32 exec_lo, exec_lo, s8
.LBB2_6:
	s_delay_alu instid0(VALU_DEP_1)
	v_cmp_gt_u32_e32 vcc_lo, s2, v1
	s_and_saveexec_b32 s2, vcc_lo
	s_cbranch_execz .LBB2_8
; %bb.7:
	v_dual_mov_b32 v3, 0 :: v_dual_add_nc_u32 v2, 32, v1
	s_delay_alu instid0(VALU_DEP_1) | instskip(SKIP_1) | instid1(VALU_DEP_2)
	v_lshlrev_b64 v[4:5], 3, v[2:3]
	v_mov_b32_e32 v2, v3
	v_add_co_u32 v4, vcc_lo, s0, v4
	s_delay_alu instid0(VALU_DEP_3)
	v_add_co_ci_u32_e32 v5, vcc_lo, s1, v5, vcc_lo
	global_store_b64 v[4:5], v[2:3], off
.LBB2_8:
	s_or_b32 exec_lo, exec_lo, s2
	s_delay_alu instid0(SALU_CYCLE_1)
	s_mov_b32 s2, exec_lo
	v_cmpx_gt_u32_e32 32, v1
	s_cbranch_execz .LBB2_10
; %bb.9:
	v_dual_mov_b32 v2, 0 :: v_dual_mov_b32 v3, 0xff
	s_delay_alu instid0(VALU_DEP_1) | instskip(NEXT) | instid1(VALU_DEP_1)
	v_lshlrev_b64 v[0:1], 3, v[1:2]
	v_add_co_u32 v0, vcc_lo, s0, v0
	s_delay_alu instid0(VALU_DEP_2)
	v_add_co_ci_u32_e32 v1, vcc_lo, s1, v1, vcc_lo
	global_store_b64 v[0:1], v[2:3], off
.LBB2_10:
	s_nop 0
	s_sendmsg sendmsg(MSG_DEALLOC_VGPRS)
	s_endpgm
	.section	.rodata,"a",@progbits
	.p2align	6, 0x0
	.amdhsa_kernel _ZN7rocprim6detail31init_lookback_scan_state_kernelINS0_19lookback_scan_stateIjLb0ELb1EEEEEvT_jjPNS4_10value_typeE
		.amdhsa_group_segment_fixed_size 0
		.amdhsa_private_segment_fixed_size 0
		.amdhsa_kernarg_size 280
		.amdhsa_user_sgpr_count 15
		.amdhsa_user_sgpr_dispatch_ptr 0
		.amdhsa_user_sgpr_queue_ptr 0
		.amdhsa_user_sgpr_kernarg_segment_ptr 1
		.amdhsa_user_sgpr_dispatch_id 0
		.amdhsa_user_sgpr_private_segment_size 0
		.amdhsa_wavefront_size32 1
		.amdhsa_uses_dynamic_stack 0
		.amdhsa_enable_private_segment 0
		.amdhsa_system_sgpr_workgroup_id_x 1
		.amdhsa_system_sgpr_workgroup_id_y 0
		.amdhsa_system_sgpr_workgroup_id_z 0
		.amdhsa_system_sgpr_workgroup_info 0
		.amdhsa_system_vgpr_workitem_id 0
		.amdhsa_next_free_vgpr 6
		.amdhsa_next_free_sgpr 16
		.amdhsa_reserve_vcc 1
		.amdhsa_float_round_mode_32 0
		.amdhsa_float_round_mode_16_64 0
		.amdhsa_float_denorm_mode_32 3
		.amdhsa_float_denorm_mode_16_64 3
		.amdhsa_dx10_clamp 1
		.amdhsa_ieee_mode 1
		.amdhsa_fp16_overflow 0
		.amdhsa_workgroup_processor_mode 1
		.amdhsa_memory_ordered 1
		.amdhsa_forward_progress 0
		.amdhsa_shared_vgpr_count 0
		.amdhsa_exception_fp_ieee_invalid_op 0
		.amdhsa_exception_fp_denorm_src 0
		.amdhsa_exception_fp_ieee_div_zero 0
		.amdhsa_exception_fp_ieee_overflow 0
		.amdhsa_exception_fp_ieee_underflow 0
		.amdhsa_exception_fp_ieee_inexact 0
		.amdhsa_exception_int_div_zero 0
	.end_amdhsa_kernel
	.section	.text._ZN7rocprim6detail31init_lookback_scan_state_kernelINS0_19lookback_scan_stateIjLb0ELb1EEEEEvT_jjPNS4_10value_typeE,"axG",@progbits,_ZN7rocprim6detail31init_lookback_scan_state_kernelINS0_19lookback_scan_stateIjLb0ELb1EEEEEvT_jjPNS4_10value_typeE,comdat
.Lfunc_end2:
	.size	_ZN7rocprim6detail31init_lookback_scan_state_kernelINS0_19lookback_scan_stateIjLb0ELb1EEEEEvT_jjPNS4_10value_typeE, .Lfunc_end2-_ZN7rocprim6detail31init_lookback_scan_state_kernelINS0_19lookback_scan_stateIjLb0ELb1EEEEEvT_jjPNS4_10value_typeE
                                        ; -- End function
	.section	.AMDGPU.csdata,"",@progbits
; Kernel info:
; codeLenInByte = 332
; NumSgprs: 18
; NumVgprs: 6
; ScratchSize: 0
; MemoryBound: 0
; FloatMode: 240
; IeeeMode: 1
; LDSByteSize: 0 bytes/workgroup (compile time only)
; SGPRBlocks: 2
; VGPRBlocks: 0
; NumSGPRsForWavesPerEU: 18
; NumVGPRsForWavesPerEU: 6
; Occupancy: 16
; WaveLimiterHint : 0
; COMPUTE_PGM_RSRC2:SCRATCH_EN: 0
; COMPUTE_PGM_RSRC2:USER_SGPR: 15
; COMPUTE_PGM_RSRC2:TRAP_HANDLER: 0
; COMPUTE_PGM_RSRC2:TGID_X_EN: 1
; COMPUTE_PGM_RSRC2:TGID_Y_EN: 0
; COMPUTE_PGM_RSRC2:TGID_Z_EN: 0
; COMPUTE_PGM_RSRC2:TIDIG_COMP_CNT: 0
	.section	.text._ZN7rocprim6detail20lookback_scan_kernelILNS0_25lookback_scan_determinismE0ELb1ENS0_19wrapped_scan_configINS_14default_configEjEEPjS6_N6thrust4plusIvEEjjNS0_19lookback_scan_stateIjLb1ELb1EEEEEvT2_T3_mT5_T4_T7_jPT6_SI_bb,"axG",@progbits,_ZN7rocprim6detail20lookback_scan_kernelILNS0_25lookback_scan_determinismE0ELb1ENS0_19wrapped_scan_configINS_14default_configEjEEPjS6_N6thrust4plusIvEEjjNS0_19lookback_scan_stateIjLb1ELb1EEEEEvT2_T3_mT5_T4_T7_jPT6_SI_bb,comdat
	.protected	_ZN7rocprim6detail20lookback_scan_kernelILNS0_25lookback_scan_determinismE0ELb1ENS0_19wrapped_scan_configINS_14default_configEjEEPjS6_N6thrust4plusIvEEjjNS0_19lookback_scan_stateIjLb1ELb1EEEEEvT2_T3_mT5_T4_T7_jPT6_SI_bb ; -- Begin function _ZN7rocprim6detail20lookback_scan_kernelILNS0_25lookback_scan_determinismE0ELb1ENS0_19wrapped_scan_configINS_14default_configEjEEPjS6_N6thrust4plusIvEEjjNS0_19lookback_scan_stateIjLb1ELb1EEEEEvT2_T3_mT5_T4_T7_jPT6_SI_bb
	.globl	_ZN7rocprim6detail20lookback_scan_kernelILNS0_25lookback_scan_determinismE0ELb1ENS0_19wrapped_scan_configINS_14default_configEjEEPjS6_N6thrust4plusIvEEjjNS0_19lookback_scan_stateIjLb1ELb1EEEEEvT2_T3_mT5_T4_T7_jPT6_SI_bb
	.p2align	8
	.type	_ZN7rocprim6detail20lookback_scan_kernelILNS0_25lookback_scan_determinismE0ELb1ENS0_19wrapped_scan_configINS_14default_configEjEEPjS6_N6thrust4plusIvEEjjNS0_19lookback_scan_stateIjLb1ELb1EEEEEvT2_T3_mT5_T4_T7_jPT6_SI_bb,@function
_ZN7rocprim6detail20lookback_scan_kernelILNS0_25lookback_scan_determinismE0ELb1ENS0_19wrapped_scan_configINS_14default_configEjEEPjS6_N6thrust4plusIvEEjjNS0_19lookback_scan_stateIjLb1ELb1EEEEEvT2_T3_mT5_T4_T7_jPT6_SI_bb: ; @_ZN7rocprim6detail20lookback_scan_kernelILNS0_25lookback_scan_determinismE0ELb1ENS0_19wrapped_scan_configINS_14default_configEjEEPjS6_N6thrust4plusIvEEjjNS0_19lookback_scan_stateIjLb1ELb1EEEEEvT2_T3_mT5_T4_T7_jPT6_SI_bb
; %bb.0:
	s_endpgm
	.section	.rodata,"a",@progbits
	.p2align	6, 0x0
	.amdhsa_kernel _ZN7rocprim6detail20lookback_scan_kernelILNS0_25lookback_scan_determinismE0ELb1ENS0_19wrapped_scan_configINS_14default_configEjEEPjS6_N6thrust4plusIvEEjjNS0_19lookback_scan_stateIjLb1ELb1EEEEEvT2_T3_mT5_T4_T7_jPT6_SI_bb
		.amdhsa_group_segment_fixed_size 0
		.amdhsa_private_segment_fixed_size 0
		.amdhsa_kernarg_size 68
		.amdhsa_user_sgpr_count 15
		.amdhsa_user_sgpr_dispatch_ptr 0
		.amdhsa_user_sgpr_queue_ptr 0
		.amdhsa_user_sgpr_kernarg_segment_ptr 1
		.amdhsa_user_sgpr_dispatch_id 0
		.amdhsa_user_sgpr_private_segment_size 0
		.amdhsa_wavefront_size32 1
		.amdhsa_uses_dynamic_stack 0
		.amdhsa_enable_private_segment 0
		.amdhsa_system_sgpr_workgroup_id_x 1
		.amdhsa_system_sgpr_workgroup_id_y 0
		.amdhsa_system_sgpr_workgroup_id_z 0
		.amdhsa_system_sgpr_workgroup_info 0
		.amdhsa_system_vgpr_workitem_id 0
		.amdhsa_next_free_vgpr 1
		.amdhsa_next_free_sgpr 1
		.amdhsa_reserve_vcc 0
		.amdhsa_float_round_mode_32 0
		.amdhsa_float_round_mode_16_64 0
		.amdhsa_float_denorm_mode_32 3
		.amdhsa_float_denorm_mode_16_64 3
		.amdhsa_dx10_clamp 1
		.amdhsa_ieee_mode 1
		.amdhsa_fp16_overflow 0
		.amdhsa_workgroup_processor_mode 1
		.amdhsa_memory_ordered 1
		.amdhsa_forward_progress 0
		.amdhsa_shared_vgpr_count 0
		.amdhsa_exception_fp_ieee_invalid_op 0
		.amdhsa_exception_fp_denorm_src 0
		.amdhsa_exception_fp_ieee_div_zero 0
		.amdhsa_exception_fp_ieee_overflow 0
		.amdhsa_exception_fp_ieee_underflow 0
		.amdhsa_exception_fp_ieee_inexact 0
		.amdhsa_exception_int_div_zero 0
	.end_amdhsa_kernel
	.section	.text._ZN7rocprim6detail20lookback_scan_kernelILNS0_25lookback_scan_determinismE0ELb1ENS0_19wrapped_scan_configINS_14default_configEjEEPjS6_N6thrust4plusIvEEjjNS0_19lookback_scan_stateIjLb1ELb1EEEEEvT2_T3_mT5_T4_T7_jPT6_SI_bb,"axG",@progbits,_ZN7rocprim6detail20lookback_scan_kernelILNS0_25lookback_scan_determinismE0ELb1ENS0_19wrapped_scan_configINS_14default_configEjEEPjS6_N6thrust4plusIvEEjjNS0_19lookback_scan_stateIjLb1ELb1EEEEEvT2_T3_mT5_T4_T7_jPT6_SI_bb,comdat
.Lfunc_end3:
	.size	_ZN7rocprim6detail20lookback_scan_kernelILNS0_25lookback_scan_determinismE0ELb1ENS0_19wrapped_scan_configINS_14default_configEjEEPjS6_N6thrust4plusIvEEjjNS0_19lookback_scan_stateIjLb1ELb1EEEEEvT2_T3_mT5_T4_T7_jPT6_SI_bb, .Lfunc_end3-_ZN7rocprim6detail20lookback_scan_kernelILNS0_25lookback_scan_determinismE0ELb1ENS0_19wrapped_scan_configINS_14default_configEjEEPjS6_N6thrust4plusIvEEjjNS0_19lookback_scan_stateIjLb1ELb1EEEEEvT2_T3_mT5_T4_T7_jPT6_SI_bb
                                        ; -- End function
	.section	.AMDGPU.csdata,"",@progbits
; Kernel info:
; codeLenInByte = 4
; NumSgprs: 0
; NumVgprs: 0
; ScratchSize: 0
; MemoryBound: 0
; FloatMode: 240
; IeeeMode: 1
; LDSByteSize: 0 bytes/workgroup (compile time only)
; SGPRBlocks: 0
; VGPRBlocks: 0
; NumSGPRsForWavesPerEU: 1
; NumVGPRsForWavesPerEU: 1
; Occupancy: 16
; WaveLimiterHint : 0
; COMPUTE_PGM_RSRC2:SCRATCH_EN: 0
; COMPUTE_PGM_RSRC2:USER_SGPR: 15
; COMPUTE_PGM_RSRC2:TRAP_HANDLER: 0
; COMPUTE_PGM_RSRC2:TGID_X_EN: 1
; COMPUTE_PGM_RSRC2:TGID_Y_EN: 0
; COMPUTE_PGM_RSRC2:TGID_Z_EN: 0
; COMPUTE_PGM_RSRC2:TIDIG_COMP_CNT: 0
	.section	.text._ZN7rocprim6detail20lookback_scan_kernelILNS0_25lookback_scan_determinismE0ELb1ENS0_19wrapped_scan_configINS_14default_configEjEEPjS6_N6thrust4plusIvEEjjNS0_19lookback_scan_stateIjLb0ELb1EEEEEvT2_T3_mT5_T4_T7_jPT6_SI_bb,"axG",@progbits,_ZN7rocprim6detail20lookback_scan_kernelILNS0_25lookback_scan_determinismE0ELb1ENS0_19wrapped_scan_configINS_14default_configEjEEPjS6_N6thrust4plusIvEEjjNS0_19lookback_scan_stateIjLb0ELb1EEEEEvT2_T3_mT5_T4_T7_jPT6_SI_bb,comdat
	.protected	_ZN7rocprim6detail20lookback_scan_kernelILNS0_25lookback_scan_determinismE0ELb1ENS0_19wrapped_scan_configINS_14default_configEjEEPjS6_N6thrust4plusIvEEjjNS0_19lookback_scan_stateIjLb0ELb1EEEEEvT2_T3_mT5_T4_T7_jPT6_SI_bb ; -- Begin function _ZN7rocprim6detail20lookback_scan_kernelILNS0_25lookback_scan_determinismE0ELb1ENS0_19wrapped_scan_configINS_14default_configEjEEPjS6_N6thrust4plusIvEEjjNS0_19lookback_scan_stateIjLb0ELb1EEEEEvT2_T3_mT5_T4_T7_jPT6_SI_bb
	.globl	_ZN7rocprim6detail20lookback_scan_kernelILNS0_25lookback_scan_determinismE0ELb1ENS0_19wrapped_scan_configINS_14default_configEjEEPjS6_N6thrust4plusIvEEjjNS0_19lookback_scan_stateIjLb0ELb1EEEEEvT2_T3_mT5_T4_T7_jPT6_SI_bb
	.p2align	8
	.type	_ZN7rocprim6detail20lookback_scan_kernelILNS0_25lookback_scan_determinismE0ELb1ENS0_19wrapped_scan_configINS_14default_configEjEEPjS6_N6thrust4plusIvEEjjNS0_19lookback_scan_stateIjLb0ELb1EEEEEvT2_T3_mT5_T4_T7_jPT6_SI_bb,@function
_ZN7rocprim6detail20lookback_scan_kernelILNS0_25lookback_scan_determinismE0ELb1ENS0_19wrapped_scan_configINS_14default_configEjEEPjS6_N6thrust4plusIvEEjjNS0_19lookback_scan_stateIjLb0ELb1EEEEEvT2_T3_mT5_T4_T7_jPT6_SI_bb: ; @_ZN7rocprim6detail20lookback_scan_kernelILNS0_25lookback_scan_determinismE0ELb1ENS0_19wrapped_scan_configINS_14default_configEjEEPjS6_N6thrust4plusIvEEjjNS0_19lookback_scan_stateIjLb0ELb1EEEEEvT2_T3_mT5_T4_T7_jPT6_SI_bb
; %bb.0:
	s_clause 0x2
	s_load_b32 s10, s[0:1], 0x28
	s_load_b64 s[2:3], s[0:1], 0x10
	s_load_b128 s[4:7], s[0:1], 0x0
	s_lshl_b32 s8, s15, 10
	s_mov_b32 s9, 0
	v_lshlrev_b32_e32 v48, 2, v0
	v_lshrrev_b32_e32 v19, 3, v0
	v_or_b32_e32 v47, 64, v0
	v_or_b32_e32 v46, 0x80, v0
	;; [unrolled: 1-line block ×13, first 2 shown]
	s_waitcnt lgkmcnt(0)
	s_add_i32 s10, s10, -1
	v_or_b32_e32 v34, 0x380, v0
	s_lshl_b32 s11, s10, 10
	v_or_b32_e32 v33, 0x3c0, v0
	s_sub_u32 s14, s2, s11
	s_subb_u32 s33, s3, 0
	s_cmp_lg_u32 s15, s10
	s_mov_b32 s3, -1
	s_cselect_b32 s34, -1, 0
	s_lshl_b64 s[12:13], s[8:9], 2
	s_delay_alu instid0(SALU_CYCLE_1)
	s_add_u32 s8, s4, s12
	s_addc_u32 s9, s5, s13
	s_and_b32 vcc_lo, exec_lo, s34
	s_cbranch_vccz .LBB4_2
; %bb.1:
	s_clause 0xf
	global_load_b32 v1, v48, s[8:9]
	global_load_b32 v2, v48, s[8:9] offset:256
	global_load_b32 v3, v48, s[8:9] offset:512
	;; [unrolled: 1-line block ×15, first 2 shown]
	v_lshrrev_b32_e32 v18, 3, v47
	v_lshrrev_b32_e32 v20, 3, v46
	;; [unrolled: 1-line block ×4, first 2 shown]
	v_and_b32_e32 v17, 4, v19
	v_lshrrev_b32_e32 v23, 3, v43
	v_lshrrev_b32_e32 v24, 3, v42
	;; [unrolled: 1-line block ×11, first 2 shown]
	v_and_b32_e32 v18, 12, v18
	v_and_b32_e32 v20, 20, v20
	;; [unrolled: 1-line block ×4, first 2 shown]
	v_add_nc_u32_e32 v17, v17, v48
	v_and_b32_e32 v23, 44, v23
	v_and_b32_e32 v24, 52, v24
	;; [unrolled: 1-line block ×11, first 2 shown]
	v_add_nc_u32_e32 v18, v18, v48
	v_add_nc_u32_e32 v20, v20, v48
	;; [unrolled: 1-line block ×4, first 2 shown]
	s_mov_b32 s3, 0
	v_add_nc_u32_e32 v23, v23, v48
	v_add_nc_u32_e32 v24, v24, v48
	;; [unrolled: 1-line block ×11, first 2 shown]
	s_waitcnt vmcnt(15)
	ds_store_b32 v17, v1
	s_waitcnt vmcnt(14)
	ds_store_b32 v18, v2 offset:256
	s_waitcnt vmcnt(13)
	ds_store_b32 v20, v3 offset:512
	;; [unrolled: 2-line block ×15, first 2 shown]
	s_waitcnt lgkmcnt(0)
	s_barrier
.LBB4_2:
	v_cmp_gt_u32_e64 s2, s14, v0
	s_and_not1_b32 vcc_lo, exec_lo, s3
	s_cbranch_vccnz .LBB4_21
; %bb.3:
	s_load_b32 s16, s[8:9], 0x0
	v_add_co_u32 v17, s3, s8, v48
	s_delay_alu instid0(VALU_DEP_1)
	v_add_co_ci_u32_e64 v18, null, s9, 0, s3
	s_waitcnt lgkmcnt(0)
	s_mov_b32 s17, s16
	s_mov_b32 s18, s16
	;; [unrolled: 1-line block ×15, first 2 shown]
	v_dual_mov_b32 v1, s16 :: v_dual_mov_b32 v2, s17
	v_dual_mov_b32 v3, s18 :: v_dual_mov_b32 v4, s19
	;; [unrolled: 1-line block ×8, first 2 shown]
	v_mov_b32_e32 v20, s16
	s_and_saveexec_b32 s3, s2
	s_cbranch_execnz .LBB4_49
; %bb.4:
	s_or_b32 exec_lo, exec_lo, s3
	s_delay_alu instid0(SALU_CYCLE_1)
	s_mov_b32 s2, exec_lo
	v_cmpx_gt_u32_e64 s14, v47
	s_cbranch_execnz .LBB4_50
.LBB4_5:
	s_or_b32 exec_lo, exec_lo, s2
	s_delay_alu instid0(SALU_CYCLE_1)
	s_mov_b32 s2, exec_lo
	v_cmpx_gt_u32_e64 s14, v46
	s_cbranch_execnz .LBB4_51
.LBB4_6:
	s_or_b32 exec_lo, exec_lo, s2
	s_delay_alu instid0(SALU_CYCLE_1)
	s_mov_b32 s2, exec_lo
	v_cmpx_gt_u32_e64 s14, v45
	s_cbranch_execnz .LBB4_52
.LBB4_7:
	s_or_b32 exec_lo, exec_lo, s2
	s_delay_alu instid0(SALU_CYCLE_1)
	s_mov_b32 s2, exec_lo
	v_cmpx_gt_u32_e64 s14, v44
	s_cbranch_execnz .LBB4_53
.LBB4_8:
	s_or_b32 exec_lo, exec_lo, s2
	s_delay_alu instid0(SALU_CYCLE_1)
	s_mov_b32 s2, exec_lo
	v_cmpx_gt_u32_e64 s14, v43
	s_cbranch_execnz .LBB4_54
.LBB4_9:
	s_or_b32 exec_lo, exec_lo, s2
	s_delay_alu instid0(SALU_CYCLE_1)
	s_mov_b32 s2, exec_lo
	v_cmpx_gt_u32_e64 s14, v42
	s_cbranch_execnz .LBB4_55
.LBB4_10:
	s_or_b32 exec_lo, exec_lo, s2
	s_delay_alu instid0(SALU_CYCLE_1)
	s_mov_b32 s2, exec_lo
	v_cmpx_gt_u32_e64 s14, v41
	s_cbranch_execnz .LBB4_56
.LBB4_11:
	s_or_b32 exec_lo, exec_lo, s2
	s_delay_alu instid0(SALU_CYCLE_1)
	s_mov_b32 s2, exec_lo
	v_cmpx_gt_u32_e64 s14, v40
	s_cbranch_execnz .LBB4_57
.LBB4_12:
	s_or_b32 exec_lo, exec_lo, s2
	s_delay_alu instid0(SALU_CYCLE_1)
	s_mov_b32 s2, exec_lo
	v_cmpx_gt_u32_e64 s14, v39
	s_cbranch_execnz .LBB4_58
.LBB4_13:
	s_or_b32 exec_lo, exec_lo, s2
	s_delay_alu instid0(SALU_CYCLE_1)
	s_mov_b32 s2, exec_lo
	v_cmpx_gt_u32_e64 s14, v38
	s_cbranch_execnz .LBB4_59
.LBB4_14:
	s_or_b32 exec_lo, exec_lo, s2
	s_delay_alu instid0(SALU_CYCLE_1)
	s_mov_b32 s2, exec_lo
	v_cmpx_gt_u32_e64 s14, v37
	s_cbranch_execnz .LBB4_60
.LBB4_15:
	s_or_b32 exec_lo, exec_lo, s2
	s_delay_alu instid0(SALU_CYCLE_1)
	s_mov_b32 s2, exec_lo
	v_cmpx_gt_u32_e64 s14, v36
	s_cbranch_execnz .LBB4_61
.LBB4_16:
	s_or_b32 exec_lo, exec_lo, s2
	s_delay_alu instid0(SALU_CYCLE_1)
	s_mov_b32 s2, exec_lo
	v_cmpx_gt_u32_e64 s14, v35
	s_cbranch_execnz .LBB4_62
.LBB4_17:
	s_or_b32 exec_lo, exec_lo, s2
	s_delay_alu instid0(SALU_CYCLE_1)
	s_mov_b32 s2, exec_lo
	v_cmpx_gt_u32_e64 s14, v34
	s_cbranch_execnz .LBB4_63
.LBB4_18:
	s_or_b32 exec_lo, exec_lo, s2
	s_delay_alu instid0(SALU_CYCLE_1)
	s_mov_b32 s2, exec_lo
	v_cmpx_gt_u32_e64 s14, v33
	s_cbranch_execz .LBB4_20
.LBB4_19:
	global_load_b32 v16, v[17:18], off offset:3840
.LBB4_20:
	s_or_b32 exec_lo, exec_lo, s2
	v_lshrrev_b32_e32 v1, 3, v47
	v_lshrrev_b32_e32 v17, 3, v46
	v_and_b32_e32 v18, 4, v19
	v_lshrrev_b32_e32 v19, 3, v45
	v_lshrrev_b32_e32 v21, 3, v44
	;; [unrolled: 1-line block ×5, first 2 shown]
	v_and_b32_e32 v1, 12, v1
	v_and_b32_e32 v17, 28, v17
	;; [unrolled: 1-line block ×4, first 2 shown]
	v_add_nc_u32_e32 v18, v18, v48
	v_and_b32_e32 v22, 60, v22
	v_and_b32_e32 v23, 60, v23
	;; [unrolled: 1-line block ×3, first 2 shown]
	v_add_nc_u32_e32 v1, v1, v48
	v_add_nc_u32_e32 v17, v17, v48
	v_lshrrev_b32_e32 v25, 3, v40
	v_add_nc_u32_e32 v19, v19, v48
	v_lshrrev_b32_e32 v26, 3, v39
	;; [unrolled: 2-line block ×3, first 2 shown]
	v_add_nc_u32_e32 v22, v22, v48
	v_add_nc_u32_e32 v23, v23, v48
	v_add_nc_u32_e32 v24, v24, v48
	s_waitcnt vmcnt(0)
	ds_store_b32 v18, v20
	ds_store_b32 v1, v2 offset:256
	ds_store_b32 v17, v3 offset:512
	;; [unrolled: 1-line block ×7, first 2 shown]
	v_lshrrev_b32_e32 v4, 3, v37
	v_lshrrev_b32_e32 v5, 3, v36
	v_and_b32_e32 v25, 0x7c, v25
	v_lshrrev_b32_e32 v6, 3, v35
	v_lshrrev_b32_e32 v7, 3, v34
	;; [unrolled: 1-line block ×3, first 2 shown]
	v_and_b32_e32 v26, 0x7c, v26
	v_and_b32_e32 v27, 0x7c, v27
	;; [unrolled: 1-line block ×4, first 2 shown]
	v_add_nc_u32_e32 v1, v25, v48
	v_and_b32_e32 v6, 0x7c, v6
	v_and_b32_e32 v7, 0x7c, v7
	;; [unrolled: 1-line block ×3, first 2 shown]
	v_add_nc_u32_e32 v2, v26, v48
	v_add_nc_u32_e32 v3, v27, v48
	;; [unrolled: 1-line block ×7, first 2 shown]
	ds_store_b32 v1, v9 offset:2048
	ds_store_b32 v2, v10 offset:2304
	;; [unrolled: 1-line block ×8, first 2 shown]
	s_waitcnt lgkmcnt(0)
	s_barrier
.LBB4_21:
	v_lshlrev_b32_e32 v1, 4, v0
	v_lshrrev_b32_e32 v50, 1, v0
	buffer_gl0_inv
	s_load_b64 s[16:17], s[0:1], 0x20
	v_lshrrev_b32_e32 v49, 5, v0
	v_cmp_gt_u32_e32 vcc_lo, 32, v0
	v_add_lshl_u32 v1, v50, v1, 2
	s_cmp_lg_u32 s15, 0
	ds_load_2addr_b32 v[29:30], v1 offset1:1
	ds_load_2addr_b32 v[31:32], v1 offset0:2 offset1:3
	ds_load_2addr_b32 v[27:28], v1 offset0:4 offset1:5
	;; [unrolled: 1-line block ×7, first 2 shown]
	s_waitcnt lgkmcnt(0)
	s_barrier
	buffer_gl0_inv
	v_add_nc_u32_e32 v1, v30, v29
	s_delay_alu instid0(VALU_DEP_1)
	v_add3_u32 v51, v1, v31, v32
	s_cbranch_scc0 .LBB4_46
; %bb.22:
	s_delay_alu instid0(VALU_DEP_1) | instskip(SKIP_1) | instid1(VALU_DEP_2)
	v_add3_u32 v1, v51, v27, v28
	v_add_lshl_u32 v2, v49, v0, 2
	v_add3_u32 v1, v1, v25, v26
	s_delay_alu instid0(VALU_DEP_1) | instskip(NEXT) | instid1(VALU_DEP_1)
	v_add3_u32 v1, v1, v23, v24
	v_add3_u32 v1, v1, v21, v22
	s_delay_alu instid0(VALU_DEP_1) | instskip(NEXT) | instid1(VALU_DEP_1)
	v_add3_u32 v1, v1, v17, v18
	v_add3_u32 v1, v1, v19, v20
	ds_store_b32 v2, v1
	s_waitcnt lgkmcnt(0)
	s_barrier
	buffer_gl0_inv
	s_and_saveexec_b32 s3, vcc_lo
	s_cbranch_execz .LBB4_24
; %bb.23:
	v_lshrrev_b32_e32 v2, 2, v0
	v_mbcnt_lo_u32_b32 v5, -1, 0
	s_delay_alu instid0(VALU_DEP_2) | instskip(NEXT) | instid1(VALU_DEP_2)
	v_and_b32_e32 v2, 12, v2
	v_and_b32_e32 v7, 15, v5
	v_add_nc_u32_e32 v9, -1, v5
	s_delay_alu instid0(VALU_DEP_3) | instskip(NEXT) | instid1(VALU_DEP_3)
	v_lshl_or_b32 v4, v0, 3, v2
	v_cmp_ne_u32_e64 s2, 0, v7
	ds_load_2addr_b32 v[2:3], v4 offset1:1
	s_waitcnt lgkmcnt(0)
	v_add_nc_u32_e32 v6, v3, v2
	s_delay_alu instid0(VALU_DEP_1) | instskip(NEXT) | instid1(VALU_DEP_1)
	v_mov_b32_dpp v8, v6 row_shr:1 row_mask:0xf bank_mask:0xf
	v_cndmask_b32_e64 v8, 0, v8, s2
	v_cmp_lt_u32_e64 s2, 1, v7
	s_delay_alu instid0(VALU_DEP_2) | instskip(NEXT) | instid1(VALU_DEP_1)
	v_add_nc_u32_e32 v6, v8, v6
	v_mov_b32_dpp v8, v6 row_shr:2 row_mask:0xf bank_mask:0xf
	s_delay_alu instid0(VALU_DEP_1) | instskip(SKIP_1) | instid1(VALU_DEP_2)
	v_cndmask_b32_e64 v8, 0, v8, s2
	v_cmp_lt_u32_e64 s2, 3, v7
	v_add_nc_u32_e32 v6, v6, v8
	s_delay_alu instid0(VALU_DEP_1) | instskip(NEXT) | instid1(VALU_DEP_1)
	v_mov_b32_dpp v8, v6 row_shr:4 row_mask:0xf bank_mask:0xf
	v_cndmask_b32_e64 v8, 0, v8, s2
	v_cmp_lt_u32_e64 s2, 7, v7
	s_delay_alu instid0(VALU_DEP_2) | instskip(NEXT) | instid1(VALU_DEP_1)
	v_add_nc_u32_e32 v6, v6, v8
	v_mov_b32_dpp v8, v6 row_shr:8 row_mask:0xf bank_mask:0xf
	s_delay_alu instid0(VALU_DEP_1) | instskip(SKIP_2) | instid1(VALU_DEP_3)
	v_cndmask_b32_e64 v7, 0, v8, s2
	v_bfe_i32 v8, v5, 4, 1
	v_cmp_gt_i32_e64 s2, 0, v9
	v_add_nc_u32_e32 v6, v6, v7
	s_delay_alu instid0(VALU_DEP_2)
	v_cndmask_b32_e64 v5, v9, v5, s2
	v_cmp_eq_u32_e64 s2, 0, v0
	ds_swizzle_b32 v7, v6 offset:swizzle(BROADCAST,32,15)
	v_lshlrev_b32_e32 v5, 2, v5
	s_waitcnt lgkmcnt(0)
	v_and_b32_e32 v7, v8, v7
	s_delay_alu instid0(VALU_DEP_1) | instskip(SKIP_3) | instid1(VALU_DEP_1)
	v_add_nc_u32_e32 v6, v6, v7
	ds_bpermute_b32 v5, v5, v6
	s_waitcnt lgkmcnt(0)
	v_add_nc_u32_e32 v2, v5, v2
	v_cndmask_b32_e64 v1, v2, v1, s2
	s_delay_alu instid0(VALU_DEP_1)
	v_add_nc_u32_e32 v2, v1, v3
	ds_store_2addr_b32 v4, v1, v2 offset1:1
.LBB4_24:
	s_or_b32 exec_lo, exec_lo, s3
	v_cmp_eq_u32_e64 s2, 0, v0
	v_mov_b32_e32 v8, 0
	s_mov_b32 s8, exec_lo
	s_waitcnt lgkmcnt(0)
	s_barrier
	buffer_gl0_inv
	v_cmpx_ne_u32_e32 0, v0
	s_cbranch_execz .LBB4_26
; %bb.25:
	v_add_nc_u32_e32 v1, -1, v0
	s_delay_alu instid0(VALU_DEP_1) | instskip(NEXT) | instid1(VALU_DEP_1)
	v_lshrrev_b32_e32 v2, 5, v1
	v_add_lshl_u32 v1, v2, v1, 2
	ds_load_b32 v8, v1
.LBB4_26:
	s_or_b32 exec_lo, exec_lo, s8
	s_and_saveexec_b32 s10, vcc_lo
	s_cbranch_execz .LBB4_45
; %bb.27:
	v_mov_b32_e32 v4, 0
	v_mbcnt_lo_u32_b32 v16, -1, 0
	s_mov_b32 s9, 0
	ds_load_b32 v1, v4 offset:256
	v_cmp_eq_u32_e64 s3, 0, v16
	s_delay_alu instid0(VALU_DEP_1)
	s_and_saveexec_b32 s11, s3
	s_cbranch_execz .LBB4_29
; %bb.28:
	s_add_i32 s8, s15, 32
	v_mov_b32_e32 v2, 1
	s_lshl_b64 s[8:9], s[8:9], 3
	s_delay_alu instid0(SALU_CYCLE_1)
	s_add_u32 s8, s16, s8
	s_addc_u32 s9, s17, s9
	s_waitcnt lgkmcnt(0)
	global_store_b64 v4, v[1:2], s[8:9]
.LBB4_29:
	s_or_b32 exec_lo, exec_lo, s11
	v_xad_u32 v2, v16, -1, s15
	s_mov_b32 s8, exec_lo
	s_delay_alu instid0(VALU_DEP_1) | instskip(NEXT) | instid1(VALU_DEP_1)
	v_add_nc_u32_e32 v3, 32, v2
	v_lshlrev_b64 v[3:4], 3, v[3:4]
	s_delay_alu instid0(VALU_DEP_1) | instskip(NEXT) | instid1(VALU_DEP_2)
	v_add_co_u32 v6, vcc_lo, s16, v3
	v_add_co_ci_u32_e32 v7, vcc_lo, s17, v4, vcc_lo
	global_load_b64 v[4:5], v[6:7], off glc
	s_waitcnt vmcnt(0)
	v_and_b32_e32 v3, 0xff, v5
	s_delay_alu instid0(VALU_DEP_1)
	v_cmpx_eq_u16_e32 0, v3
	s_cbranch_execz .LBB4_33
; %bb.30:
	s_mov_b32 s9, 0
.LBB4_31:                               ; =>This Inner Loop Header: Depth=1
	global_load_b64 v[4:5], v[6:7], off glc
	s_waitcnt vmcnt(0)
	v_and_b32_e32 v3, 0xff, v5
	s_delay_alu instid0(VALU_DEP_1) | instskip(SKIP_1) | instid1(SALU_CYCLE_1)
	v_cmp_ne_u16_e32 vcc_lo, 0, v3
	s_or_b32 s9, vcc_lo, s9
	s_and_not1_b32 exec_lo, exec_lo, s9
	s_cbranch_execnz .LBB4_31
; %bb.32:
	s_or_b32 exec_lo, exec_lo, s9
.LBB4_33:
	s_delay_alu instid0(SALU_CYCLE_1)
	s_or_b32 exec_lo, exec_lo, s8
	v_cmp_ne_u32_e32 vcc_lo, 31, v16
	v_lshlrev_b32_e64 v10, v16, -1
	v_add_nc_u32_e32 v11, 1, v16
	v_add_nc_u32_e32 v13, 2, v16
	;; [unrolled: 1-line block ×3, first 2 shown]
	v_add_co_ci_u32_e32 v3, vcc_lo, 0, v16, vcc_lo
	v_add_nc_u32_e32 v53, 8, v16
	v_add_nc_u32_e32 v55, 16, v16
	s_delay_alu instid0(VALU_DEP_3)
	v_lshlrev_b32_e32 v9, 2, v3
	v_and_b32_e32 v3, 0xff, v5
	ds_bpermute_b32 v6, v9, v4
	v_cmp_eq_u16_e32 vcc_lo, 2, v3
	v_and_or_b32 v3, vcc_lo, v10, 0x80000000
	v_cmp_gt_u32_e32 vcc_lo, 30, v16
	s_delay_alu instid0(VALU_DEP_2) | instskip(SKIP_1) | instid1(VALU_DEP_2)
	v_ctz_i32_b32_e32 v3, v3
	v_cndmask_b32_e64 v7, 0, 1, vcc_lo
	v_cmp_le_u32_e32 vcc_lo, v11, v3
	s_waitcnt lgkmcnt(0)
	s_delay_alu instid0(VALU_DEP_2) | instskip(NEXT) | instid1(VALU_DEP_1)
	v_dual_cndmask_b32 v6, 0, v6 :: v_dual_lshlrev_b32 v7, 1, v7
	v_add_lshl_u32 v12, v7, v16, 2
	v_cmp_gt_u32_e32 vcc_lo, 28, v16
	s_delay_alu instid0(VALU_DEP_3) | instskip(SKIP_4) | instid1(VALU_DEP_1)
	v_add_nc_u32_e32 v4, v6, v4
	v_cndmask_b32_e64 v7, 0, 1, vcc_lo
	v_cmp_le_u32_e32 vcc_lo, v13, v3
	ds_bpermute_b32 v6, v12, v4
	v_lshlrev_b32_e32 v7, 2, v7
	v_add_lshl_u32 v14, v7, v16, 2
	s_waitcnt lgkmcnt(0)
	v_cndmask_b32_e32 v6, 0, v6, vcc_lo
	v_cmp_gt_u32_e32 vcc_lo, 24, v16
	s_delay_alu instid0(VALU_DEP_2) | instskip(SKIP_4) | instid1(VALU_DEP_1)
	v_add_nc_u32_e32 v4, v4, v6
	v_cndmask_b32_e64 v7, 0, 1, vcc_lo
	v_cmp_le_u32_e32 vcc_lo, v15, v3
	ds_bpermute_b32 v6, v14, v4
	v_lshlrev_b32_e32 v7, 3, v7
	v_add_lshl_u32 v52, v7, v16, 2
	s_waitcnt lgkmcnt(0)
	v_cndmask_b32_e32 v6, 0, v6, vcc_lo
	v_cmp_gt_u32_e32 vcc_lo, 16, v16
	s_delay_alu instid0(VALU_DEP_2) | instskip(SKIP_4) | instid1(VALU_DEP_1)
	v_add_nc_u32_e32 v4, v4, v6
	v_cndmask_b32_e64 v7, 0, 1, vcc_lo
	v_cmp_le_u32_e32 vcc_lo, v53, v3
	ds_bpermute_b32 v6, v52, v4
	v_lshlrev_b32_e32 v7, 4, v7
	v_add_lshl_u32 v54, v7, v16, 2
	s_waitcnt lgkmcnt(0)
	v_cndmask_b32_e32 v6, 0, v6, vcc_lo
	v_cmp_le_u32_e32 vcc_lo, v55, v3
	s_delay_alu instid0(VALU_DEP_2) | instskip(SKIP_3) | instid1(VALU_DEP_1)
	v_add_nc_u32_e32 v4, v4, v6
	ds_bpermute_b32 v6, v54, v4
	s_waitcnt lgkmcnt(0)
	v_cndmask_b32_e32 v3, 0, v6, vcc_lo
	v_dual_mov_b32 v3, 0 :: v_dual_add_nc_u32 v4, v4, v3
	s_branch .LBB4_35
.LBB4_34:                               ;   in Loop: Header=BB4_35 Depth=1
	s_or_b32 exec_lo, exec_lo, s8
	ds_bpermute_b32 v7, v9, v4
	v_and_b32_e32 v6, 0xff, v5
	v_subrev_nc_u32_e32 v2, 32, v2
	s_delay_alu instid0(VALU_DEP_2) | instskip(SKIP_1) | instid1(VALU_DEP_1)
	v_cmp_eq_u16_e32 vcc_lo, 2, v6
	v_and_or_b32 v6, vcc_lo, v10, 0x80000000
	v_ctz_i32_b32_e32 v6, v6
	s_delay_alu instid0(VALU_DEP_1) | instskip(SKIP_3) | instid1(VALU_DEP_2)
	v_cmp_le_u32_e32 vcc_lo, v11, v6
	s_waitcnt lgkmcnt(0)
	v_cndmask_b32_e32 v7, 0, v7, vcc_lo
	v_cmp_le_u32_e32 vcc_lo, v13, v6
	v_add_nc_u32_e32 v4, v7, v4
	ds_bpermute_b32 v7, v12, v4
	s_waitcnt lgkmcnt(0)
	v_cndmask_b32_e32 v7, 0, v7, vcc_lo
	v_cmp_le_u32_e32 vcc_lo, v15, v6
	s_delay_alu instid0(VALU_DEP_2) | instskip(SKIP_4) | instid1(VALU_DEP_2)
	v_add_nc_u32_e32 v4, v4, v7
	ds_bpermute_b32 v7, v14, v4
	s_waitcnt lgkmcnt(0)
	v_cndmask_b32_e32 v7, 0, v7, vcc_lo
	v_cmp_le_u32_e32 vcc_lo, v53, v6
	v_add_nc_u32_e32 v4, v4, v7
	ds_bpermute_b32 v7, v52, v4
	s_waitcnt lgkmcnt(0)
	v_cndmask_b32_e32 v7, 0, v7, vcc_lo
	v_cmp_le_u32_e32 vcc_lo, v55, v6
	s_delay_alu instid0(VALU_DEP_2) | instskip(SKIP_3) | instid1(VALU_DEP_1)
	v_add_nc_u32_e32 v4, v4, v7
	ds_bpermute_b32 v7, v54, v4
	s_waitcnt lgkmcnt(0)
	v_cndmask_b32_e32 v6, 0, v7, vcc_lo
	v_add3_u32 v4, v6, v16, v4
.LBB4_35:                               ; =>This Loop Header: Depth=1
                                        ;     Child Loop BB4_38 Depth 2
	s_delay_alu instid0(VALU_DEP_1) | instskip(NEXT) | instid1(VALU_DEP_1)
	v_dual_mov_b32 v16, v4 :: v_dual_and_b32 v5, 0xff, v5
	v_cmp_ne_u16_e32 vcc_lo, 2, v5
	v_cndmask_b32_e64 v5, 0, 1, vcc_lo
	;;#ASMSTART
	;;#ASMEND
	s_delay_alu instid0(VALU_DEP_1)
	v_cmp_ne_u32_e32 vcc_lo, 0, v5
	s_cmp_lg_u32 vcc_lo, exec_lo
	s_cbranch_scc1 .LBB4_40
; %bb.36:                               ;   in Loop: Header=BB4_35 Depth=1
	v_lshlrev_b64 v[4:5], 3, v[2:3]
	s_mov_b32 s8, exec_lo
	s_delay_alu instid0(VALU_DEP_1) | instskip(NEXT) | instid1(VALU_DEP_2)
	v_add_co_u32 v6, vcc_lo, s16, v4
	v_add_co_ci_u32_e32 v7, vcc_lo, s17, v5, vcc_lo
	global_load_b64 v[4:5], v[6:7], off glc
	s_waitcnt vmcnt(0)
	v_and_b32_e32 v56, 0xff, v5
	s_delay_alu instid0(VALU_DEP_1)
	v_cmpx_eq_u16_e32 0, v56
	s_cbranch_execz .LBB4_34
; %bb.37:                               ;   in Loop: Header=BB4_35 Depth=1
	s_mov_b32 s9, 0
.LBB4_38:                               ;   Parent Loop BB4_35 Depth=1
                                        ; =>  This Inner Loop Header: Depth=2
	global_load_b64 v[4:5], v[6:7], off glc
	s_waitcnt vmcnt(0)
	v_and_b32_e32 v56, 0xff, v5
	s_delay_alu instid0(VALU_DEP_1) | instskip(SKIP_1) | instid1(SALU_CYCLE_1)
	v_cmp_ne_u16_e32 vcc_lo, 0, v56
	s_or_b32 s9, vcc_lo, s9
	s_and_not1_b32 exec_lo, exec_lo, s9
	s_cbranch_execnz .LBB4_38
; %bb.39:                               ;   in Loop: Header=BB4_35 Depth=1
	s_or_b32 exec_lo, exec_lo, s9
	s_branch .LBB4_34
.LBB4_40:                               ;   in Loop: Header=BB4_35 Depth=1
                                        ; implicit-def: $vgpr4
                                        ; implicit-def: $vgpr5
	s_cbranch_execz .LBB4_35
; %bb.41:
	s_and_saveexec_b32 s8, s3
	s_cbranch_execz .LBB4_43
; %bb.42:
	s_add_i32 s18, s15, 32
	s_mov_b32 s19, 0
	v_dual_mov_b32 v3, 0 :: v_dual_mov_b32 v2, 2
	s_lshl_b64 s[18:19], s[18:19], 3
	v_add_nc_u32_e32 v1, v16, v1
	s_add_u32 s18, s16, s18
	s_addc_u32 s19, s17, s19
	global_store_b64 v3, v[1:2], s[18:19]
.LBB4_43:
	s_or_b32 exec_lo, exec_lo, s8
	s_delay_alu instid0(SALU_CYCLE_1)
	s_and_b32 exec_lo, exec_lo, s2
	s_cbranch_execz .LBB4_45
; %bb.44:
	v_mov_b32_e32 v1, 0
	ds_store_b32 v1, v16
.LBB4_45:
	s_or_b32 exec_lo, exec_lo, s10
	v_mov_b32_e32 v1, 0
	s_waitcnt lgkmcnt(0)
	s_waitcnt_vscnt null, 0x0
	s_barrier
	buffer_gl0_inv
	ds_load_b32 v1, v1
	s_waitcnt lgkmcnt(0)
	v_add_nc_u32_e32 v1, v1, v8
	s_delay_alu instid0(VALU_DEP_1) | instskip(NEXT) | instid1(VALU_DEP_1)
	v_add_nc_u32_e32 v2, v1, v29
	v_add_nc_u32_e32 v3, v2, v30
	s_delay_alu instid0(VALU_DEP_1) | instskip(NEXT) | instid1(VALU_DEP_1)
	v_add_nc_u32_e32 v4, v3, v31
	;; [unrolled: 3-line block ×7, first 2 shown]
	v_add_nc_u32_e32 v15, v14, v18
	s_delay_alu instid0(VALU_DEP_1)
	v_add_nc_u32_e32 v16, v15, v19
	s_load_b128 s[8:11], s[0:1], 0x30
	s_branch .LBB4_72
.LBB4_46:
                                        ; implicit-def: $vgpr1_vgpr2_vgpr3_vgpr4_vgpr5_vgpr6_vgpr7_vgpr8_vgpr9_vgpr10_vgpr11_vgpr12_vgpr13_vgpr14_vgpr15_vgpr16
	s_load_b128 s[8:11], s[0:1], 0x30
	s_cbranch_execz .LBB4_72
; %bb.47:
	s_load_b32 s2, s[0:1], 0x40
	s_waitcnt lgkmcnt(0)
	s_bitcmp0_b32 s2, 0
	s_cbranch_scc1 .LBB4_64
; %bb.48:
	s_add_u32 s2, s4, -4
	s_addc_u32 s3, s5, -1
	s_load_b32 s2, s[2:3], 0x0
	s_load_b32 s3, s[8:9], 0x0
	s_waitcnt lgkmcnt(0)
	s_add_i32 s3, s3, s2
	s_branch .LBB4_65
.LBB4_49:
	global_load_b32 v20, v[17:18], off
	v_dual_mov_b32 v1, s16 :: v_dual_mov_b32 v2, s17
	v_dual_mov_b32 v3, s18 :: v_dual_mov_b32 v4, s19
	v_dual_mov_b32 v5, s20 :: v_dual_mov_b32 v6, s21
	v_dual_mov_b32 v7, s22 :: v_dual_mov_b32 v8, s23
	v_dual_mov_b32 v9, s24 :: v_dual_mov_b32 v10, s25
	v_dual_mov_b32 v11, s26 :: v_dual_mov_b32 v12, s27
	v_dual_mov_b32 v13, s28 :: v_dual_mov_b32 v14, s29
	v_dual_mov_b32 v15, s30 :: v_dual_mov_b32 v16, s31
                                        ; kill: def $vgpr1 killed $vgpr20 killed $exec
	s_or_b32 exec_lo, exec_lo, s3
	s_delay_alu instid0(SALU_CYCLE_1)
	s_mov_b32 s2, exec_lo
	v_cmpx_gt_u32_e64 s14, v47
	s_cbranch_execz .LBB4_5
.LBB4_50:
	global_load_b32 v2, v[17:18], off offset:256
	s_or_b32 exec_lo, exec_lo, s2
	s_delay_alu instid0(SALU_CYCLE_1)
	s_mov_b32 s2, exec_lo
	v_cmpx_gt_u32_e64 s14, v46
	s_cbranch_execz .LBB4_6
.LBB4_51:
	global_load_b32 v3, v[17:18], off offset:512
	s_or_b32 exec_lo, exec_lo, s2
	s_delay_alu instid0(SALU_CYCLE_1)
	s_mov_b32 s2, exec_lo
	v_cmpx_gt_u32_e64 s14, v45
	s_cbranch_execz .LBB4_7
.LBB4_52:
	global_load_b32 v4, v[17:18], off offset:768
	s_or_b32 exec_lo, exec_lo, s2
	s_delay_alu instid0(SALU_CYCLE_1)
	s_mov_b32 s2, exec_lo
	v_cmpx_gt_u32_e64 s14, v44
	s_cbranch_execz .LBB4_8
.LBB4_53:
	global_load_b32 v5, v[17:18], off offset:1024
	s_or_b32 exec_lo, exec_lo, s2
	s_delay_alu instid0(SALU_CYCLE_1)
	s_mov_b32 s2, exec_lo
	v_cmpx_gt_u32_e64 s14, v43
	s_cbranch_execz .LBB4_9
.LBB4_54:
	global_load_b32 v6, v[17:18], off offset:1280
	s_or_b32 exec_lo, exec_lo, s2
	s_delay_alu instid0(SALU_CYCLE_1)
	s_mov_b32 s2, exec_lo
	v_cmpx_gt_u32_e64 s14, v42
	s_cbranch_execz .LBB4_10
.LBB4_55:
	global_load_b32 v7, v[17:18], off offset:1536
	s_or_b32 exec_lo, exec_lo, s2
	s_delay_alu instid0(SALU_CYCLE_1)
	s_mov_b32 s2, exec_lo
	v_cmpx_gt_u32_e64 s14, v41
	s_cbranch_execz .LBB4_11
.LBB4_56:
	global_load_b32 v8, v[17:18], off offset:1792
	s_or_b32 exec_lo, exec_lo, s2
	s_delay_alu instid0(SALU_CYCLE_1)
	s_mov_b32 s2, exec_lo
	v_cmpx_gt_u32_e64 s14, v40
	s_cbranch_execz .LBB4_12
.LBB4_57:
	global_load_b32 v9, v[17:18], off offset:2048
	s_or_b32 exec_lo, exec_lo, s2
	s_delay_alu instid0(SALU_CYCLE_1)
	s_mov_b32 s2, exec_lo
	v_cmpx_gt_u32_e64 s14, v39
	s_cbranch_execz .LBB4_13
.LBB4_58:
	global_load_b32 v10, v[17:18], off offset:2304
	s_or_b32 exec_lo, exec_lo, s2
	s_delay_alu instid0(SALU_CYCLE_1)
	s_mov_b32 s2, exec_lo
	v_cmpx_gt_u32_e64 s14, v38
	s_cbranch_execz .LBB4_14
.LBB4_59:
	global_load_b32 v11, v[17:18], off offset:2560
	s_or_b32 exec_lo, exec_lo, s2
	s_delay_alu instid0(SALU_CYCLE_1)
	s_mov_b32 s2, exec_lo
	v_cmpx_gt_u32_e64 s14, v37
	s_cbranch_execz .LBB4_15
.LBB4_60:
	global_load_b32 v12, v[17:18], off offset:2816
	s_or_b32 exec_lo, exec_lo, s2
	s_delay_alu instid0(SALU_CYCLE_1)
	s_mov_b32 s2, exec_lo
	v_cmpx_gt_u32_e64 s14, v36
	s_cbranch_execz .LBB4_16
.LBB4_61:
	global_load_b32 v13, v[17:18], off offset:3072
	s_or_b32 exec_lo, exec_lo, s2
	s_delay_alu instid0(SALU_CYCLE_1)
	s_mov_b32 s2, exec_lo
	v_cmpx_gt_u32_e64 s14, v35
	s_cbranch_execz .LBB4_17
.LBB4_62:
	global_load_b32 v14, v[17:18], off offset:3328
	s_or_b32 exec_lo, exec_lo, s2
	s_delay_alu instid0(SALU_CYCLE_1)
	s_mov_b32 s2, exec_lo
	v_cmpx_gt_u32_e64 s14, v34
	s_cbranch_execz .LBB4_18
.LBB4_63:
	global_load_b32 v15, v[17:18], off offset:3584
	s_or_b32 exec_lo, exec_lo, s2
	s_delay_alu instid0(SALU_CYCLE_1)
	s_mov_b32 s2, exec_lo
	v_cmpx_gt_u32_e64 s14, v33
	s_cbranch_execnz .LBB4_19
	s_branch .LBB4_20
.LBB4_64:
	s_load_b32 s3, s[0:1], 0x18
.LBB4_65:
	v_add3_u32 v1, v51, v27, v28
	v_add_lshl_u32 v2, v49, v0, 2
	s_mov_b32 s2, exec_lo
	s_delay_alu instid0(VALU_DEP_2) | instskip(NEXT) | instid1(VALU_DEP_1)
	v_add3_u32 v1, v1, v25, v26
	v_add3_u32 v1, v1, v23, v24
	s_delay_alu instid0(VALU_DEP_1) | instskip(NEXT) | instid1(VALU_DEP_1)
	v_add3_u32 v1, v1, v21, v22
	v_add3_u32 v1, v1, v17, v18
	s_delay_alu instid0(VALU_DEP_1)
	v_add3_u32 v1, v1, v19, v20
	ds_store_b32 v2, v1
	s_waitcnt lgkmcnt(0)
	s_barrier
	buffer_gl0_inv
	v_cmpx_gt_u32_e32 32, v0
	s_cbranch_execz .LBB4_67
; %bb.66:
	v_lshrrev_b32_e32 v2, 2, v0
	v_mbcnt_lo_u32_b32 v5, -1, 0
	s_delay_alu instid0(VALU_DEP_2) | instskip(NEXT) | instid1(VALU_DEP_2)
	v_and_b32_e32 v2, 12, v2
	v_add_nc_u32_e32 v9, -1, v5
	s_delay_alu instid0(VALU_DEP_2) | instskip(SKIP_3) | instid1(VALU_DEP_1)
	v_lshl_or_b32 v4, v0, 3, v2
	ds_load_2addr_b32 v[2:3], v4 offset1:1
	s_waitcnt lgkmcnt(0)
	v_add_nc_u32_e32 v6, v3, v2
	v_mov_b32_dpp v8, v6 row_shr:1 row_mask:0xf bank_mask:0xf
	v_and_b32_e32 v7, 15, v5
	s_delay_alu instid0(VALU_DEP_1) | instskip(NEXT) | instid1(VALU_DEP_3)
	v_cmp_ne_u32_e32 vcc_lo, 0, v7
	v_cndmask_b32_e32 v8, 0, v8, vcc_lo
	v_cmp_lt_u32_e32 vcc_lo, 1, v7
	s_delay_alu instid0(VALU_DEP_2) | instskip(NEXT) | instid1(VALU_DEP_1)
	v_add_nc_u32_e32 v6, v8, v6
	v_mov_b32_dpp v8, v6 row_shr:2 row_mask:0xf bank_mask:0xf
	s_delay_alu instid0(VALU_DEP_1) | instskip(SKIP_1) | instid1(VALU_DEP_2)
	v_cndmask_b32_e32 v8, 0, v8, vcc_lo
	v_cmp_lt_u32_e32 vcc_lo, 3, v7
	v_add_nc_u32_e32 v6, v6, v8
	s_delay_alu instid0(VALU_DEP_1) | instskip(NEXT) | instid1(VALU_DEP_1)
	v_mov_b32_dpp v8, v6 row_shr:4 row_mask:0xf bank_mask:0xf
	v_cndmask_b32_e32 v8, 0, v8, vcc_lo
	v_cmp_lt_u32_e32 vcc_lo, 7, v7
	s_delay_alu instid0(VALU_DEP_2) | instskip(NEXT) | instid1(VALU_DEP_1)
	v_add_nc_u32_e32 v6, v6, v8
	v_mov_b32_dpp v8, v6 row_shr:8 row_mask:0xf bank_mask:0xf
	s_delay_alu instid0(VALU_DEP_1) | instskip(SKIP_2) | instid1(VALU_DEP_3)
	v_cndmask_b32_e32 v7, 0, v8, vcc_lo
	v_bfe_i32 v8, v5, 4, 1
	v_cmp_gt_i32_e32 vcc_lo, 0, v9
	v_dual_cndmask_b32 v5, v9, v5 :: v_dual_add_nc_u32 v6, v6, v7
	v_cmp_eq_u32_e32 vcc_lo, 0, v0
	ds_swizzle_b32 v7, v6 offset:swizzle(BROADCAST,32,15)
	v_lshlrev_b32_e32 v5, 2, v5
	s_waitcnt lgkmcnt(0)
	v_and_b32_e32 v7, v8, v7
	s_delay_alu instid0(VALU_DEP_1) | instskip(SKIP_3) | instid1(VALU_DEP_1)
	v_add_nc_u32_e32 v6, v6, v7
	ds_bpermute_b32 v5, v5, v6
	s_waitcnt lgkmcnt(0)
	v_add_nc_u32_e32 v2, v5, v2
	v_cndmask_b32_e32 v1, v2, v1, vcc_lo
	s_delay_alu instid0(VALU_DEP_1)
	v_add_nc_u32_e32 v2, v1, v3
	ds_store_2addr_b32 v4, v1, v2 offset1:1
.LBB4_67:
	s_or_b32 exec_lo, exec_lo, s2
	v_cmp_eq_u32_e32 vcc_lo, 0, v0
	v_mov_b32_e32 v1, s3
	s_mov_b32 s4, exec_lo
	s_waitcnt lgkmcnt(0)
	s_barrier
	buffer_gl0_inv
	v_cmpx_ne_u32_e32 0, v0
	s_cbranch_execz .LBB4_69
; %bb.68:
	v_add_nc_u32_e32 v1, -1, v0
	s_delay_alu instid0(VALU_DEP_1) | instskip(NEXT) | instid1(VALU_DEP_1)
	v_lshrrev_b32_e32 v2, 5, v1
	v_add_lshl_u32 v1, v2, v1, 2
	ds_load_b32 v1, v1
	s_waitcnt lgkmcnt(0)
	v_add_nc_u32_e32 v1, s3, v1
.LBB4_69:
	s_or_b32 exec_lo, exec_lo, s4
	s_delay_alu instid0(VALU_DEP_1) | instskip(NEXT) | instid1(VALU_DEP_1)
	v_add_nc_u32_e32 v2, v1, v29
	v_add_nc_u32_e32 v3, v2, v30
	s_delay_alu instid0(VALU_DEP_1) | instskip(NEXT) | instid1(VALU_DEP_1)
	v_add_nc_u32_e32 v4, v3, v31
	v_add_nc_u32_e32 v5, v4, v32
	;; [unrolled: 3-line block ×7, first 2 shown]
	s_delay_alu instid0(VALU_DEP_1)
	v_add_nc_u32_e32 v16, v15, v19
	s_and_saveexec_b32 s2, vcc_lo
	s_cbranch_execz .LBB4_71
; %bb.70:
	v_dual_mov_b32 v19, 0 :: v_dual_mov_b32 v18, 2
	ds_load_b32 v17, v19 offset:256
	s_waitcnt lgkmcnt(0)
	v_add_nc_u32_e32 v17, s3, v17
	global_store_b64 v19, v[17:18], s[16:17] offset:256
.LBB4_71:
	s_or_b32 exec_lo, exec_lo, s2
.LBB4_72:
	v_lshlrev_b32_e32 v17, 6, v0
	s_add_u32 s2, s6, s12
	s_addc_u32 s3, s7, s13
	s_and_b32 vcc_lo, exec_lo, s34
	s_mov_b32 s4, -1
	s_waitcnt lgkmcnt(0)
	s_waitcnt_vscnt null, 0x0
	s_barrier
	buffer_gl0_inv
	s_cbranch_vccz .LBB4_74
; %bb.73:
	v_lshl_add_u32 v18, v50, 2, v17
	v_lshrrev_b32_e32 v26, 5, v40
	v_lshrrev_b32_e32 v27, 5, v39
	;; [unrolled: 1-line block ×4, first 2 shown]
	ds_store_2addr_b32 v18, v1, v2 offset1:1
	ds_store_2addr_b32 v18, v3, v4 offset0:2 offset1:3
	ds_store_2addr_b32 v18, v5, v6 offset0:4 offset1:5
	;; [unrolled: 1-line block ×7, first 2 shown]
	v_lshrrev_b32_e32 v18, 5, v47
	v_lshrrev_b32_e32 v21, 5, v45
	v_lshrrev_b32_e32 v29, 5, v37
	v_lshrrev_b32_e32 v22, 5, v44
	v_lshrrev_b32_e32 v23, 5, v43
	v_lshrrev_b32_e32 v24, 5, v42
	v_lshrrev_b32_e32 v25, 5, v41
	v_lshrrev_b32_e32 v30, 5, v36
	v_lshrrev_b32_e32 v31, 5, v35
	v_lshrrev_b32_e32 v32, 5, v34
	v_lshrrev_b32_e32 v51, 5, v33
	v_add_lshl_u32 v20, v49, v0, 2
	v_add_lshl_u32 v26, v26, v0, 2
	;; [unrolled: 1-line block ×16, first 2 shown]
	s_waitcnt lgkmcnt(0)
	s_barrier
	buffer_gl0_inv
	ds_load_b32 v20, v20
	ds_load_b32 v18, v18 offset:256
	ds_load_b32 v19, v19 offset:512
	;; [unrolled: 1-line block ×15, first 2 shown]
	s_waitcnt lgkmcnt(15)
	global_store_b32 v48, v20, s[2:3]
	s_waitcnt lgkmcnt(14)
	global_store_b32 v48, v18, s[2:3] offset:256
	s_waitcnt lgkmcnt(13)
	global_store_b32 v48, v19, s[2:3] offset:512
	;; [unrolled: 2-line block ×7, first 2 shown]
	s_mov_b32 s4, 0
	s_waitcnt lgkmcnt(7)
	global_store_b32 v48, v26, s[2:3] offset:2048
	s_waitcnt lgkmcnt(6)
	global_store_b32 v48, v27, s[2:3] offset:2304
	;; [unrolled: 2-line block ×8, first 2 shown]
.LBB4_74:
	s_and_not1_b32 vcc_lo, exec_lo, s4
	s_cbranch_vccnz .LBB4_147
; %bb.75:
	v_lshl_add_u32 v17, v50, 2, v17
	ds_store_2addr_b32 v17, v1, v2 offset1:1
	ds_store_2addr_b32 v17, v3, v4 offset0:2 offset1:3
	ds_store_2addr_b32 v17, v5, v6 offset0:4 offset1:5
	;; [unrolled: 1-line block ×7, first 2 shown]
	v_lshrrev_b32_e32 v1, 5, v47
	v_lshrrev_b32_e32 v2, 5, v46
	;; [unrolled: 1-line block ×6, first 2 shown]
	v_add_lshl_u32 v3, v49, v0, 2
	v_lshrrev_b32_e32 v8, 5, v41
	v_add_lshl_u32 v1, v1, v0, 2
	v_lshrrev_b32_e32 v14, 5, v40
	;; [unrolled: 2-line block ×3, first 2 shown]
	v_lshrrev_b32_e32 v16, 5, v38
	v_add_lshl_u32 v9, v4, v0, 2
	v_add_lshl_u32 v10, v5, v0, 2
	;; [unrolled: 1-line block ×4, first 2 shown]
	s_waitcnt lgkmcnt(0)
	s_waitcnt_vscnt null, 0x0
	s_barrier
	buffer_gl0_inv
	v_add_lshl_u32 v13, v8, v0, 2
	ds_load_b32 v5, v3
	ds_load_b32 v4, v1 offset:256
	ds_load_b32 v6, v2 offset:512
	;; [unrolled: 1-line block ×7, first 2 shown]
	v_lshrrev_b32_e32 v12, 5, v37
	v_add_lshl_u32 v1, v14, v0, 2
	v_lshrrev_b32_e32 v13, 5, v36
	v_lshrrev_b32_e32 v14, 5, v35
	v_add_lshl_u32 v2, v15, v0, 2
	v_add_lshl_u32 v3, v16, v0, 2
	v_lshrrev_b32_e32 v15, 5, v34
	v_lshrrev_b32_e32 v16, 5, v33
	v_add_lshl_u32 v17, v12, v0, 2
	v_add_lshl_u32 v18, v13, v0, 2
	v_add_lshl_u32 v19, v14, v0, 2
	v_add_lshl_u32 v20, v15, v0, 2
	v_add_lshl_u32 v21, v16, v0, 2
	ds_load_b32 v12, v1 offset:2048
	ds_load_b32 v13, v2 offset:2304
	;; [unrolled: 1-line block ×8, first 2 shown]
	v_add_co_u32 v2, s2, s2, v48
	v_mov_b32_e32 v1, 0
	v_add_co_ci_u32_e64 v3, null, s3, 0, s2
	s_mov_b32 s2, exec_lo
	v_cmpx_gt_u32_e64 s14, v0
	s_cbranch_execnz .LBB4_148
; %bb.76:
	s_or_b32 exec_lo, exec_lo, s2
	s_delay_alu instid0(SALU_CYCLE_1)
	s_mov_b32 s2, exec_lo
	v_cmpx_gt_u32_e64 s14, v47
	s_cbranch_execnz .LBB4_149
.LBB4_77:
	s_or_b32 exec_lo, exec_lo, s2
	s_delay_alu instid0(SALU_CYCLE_1)
	s_mov_b32 s2, exec_lo
	v_cmpx_gt_u32_e64 s14, v46
	s_cbranch_execnz .LBB4_150
.LBB4_78:
	s_or_b32 exec_lo, exec_lo, s2
	s_delay_alu instid0(SALU_CYCLE_1)
	s_mov_b32 s2, exec_lo
	v_cmpx_gt_u32_e64 s14, v45
	s_cbranch_execnz .LBB4_151
.LBB4_79:
	s_or_b32 exec_lo, exec_lo, s2
	s_delay_alu instid0(SALU_CYCLE_1)
	s_mov_b32 s2, exec_lo
	v_cmpx_gt_u32_e64 s14, v44
	s_cbranch_execnz .LBB4_152
.LBB4_80:
	s_or_b32 exec_lo, exec_lo, s2
	s_delay_alu instid0(SALU_CYCLE_1)
	s_mov_b32 s2, exec_lo
	v_cmpx_gt_u32_e64 s14, v43
	s_cbranch_execnz .LBB4_153
.LBB4_81:
	s_or_b32 exec_lo, exec_lo, s2
	s_delay_alu instid0(SALU_CYCLE_1)
	s_mov_b32 s2, exec_lo
	v_cmpx_gt_u32_e64 s14, v42
	s_cbranch_execnz .LBB4_154
.LBB4_82:
	s_or_b32 exec_lo, exec_lo, s2
	s_delay_alu instid0(SALU_CYCLE_1)
	s_mov_b32 s2, exec_lo
	v_cmpx_gt_u32_e64 s14, v41
	s_cbranch_execnz .LBB4_155
.LBB4_83:
	s_or_b32 exec_lo, exec_lo, s2
	s_delay_alu instid0(SALU_CYCLE_1)
	s_mov_b32 s2, exec_lo
	v_cmpx_gt_u32_e64 s14, v40
	s_cbranch_execnz .LBB4_156
.LBB4_84:
	s_or_b32 exec_lo, exec_lo, s2
	s_delay_alu instid0(SALU_CYCLE_1)
	s_mov_b32 s2, exec_lo
	v_cmpx_gt_u32_e64 s14, v39
	s_cbranch_execnz .LBB4_157
.LBB4_85:
	s_or_b32 exec_lo, exec_lo, s2
	s_delay_alu instid0(SALU_CYCLE_1)
	s_mov_b32 s2, exec_lo
	v_cmpx_gt_u32_e64 s14, v38
	s_cbranch_execnz .LBB4_158
.LBB4_86:
	s_or_b32 exec_lo, exec_lo, s2
	s_delay_alu instid0(SALU_CYCLE_1)
	s_mov_b32 s2, exec_lo
	v_cmpx_gt_u32_e64 s14, v37
	s_cbranch_execnz .LBB4_159
.LBB4_87:
	s_or_b32 exec_lo, exec_lo, s2
	s_delay_alu instid0(SALU_CYCLE_1)
	s_mov_b32 s2, exec_lo
	v_cmpx_gt_u32_e64 s14, v36
	s_cbranch_execnz .LBB4_160
.LBB4_88:
	s_or_b32 exec_lo, exec_lo, s2
	s_delay_alu instid0(SALU_CYCLE_1)
	s_mov_b32 s2, exec_lo
	v_cmpx_gt_u32_e64 s14, v35
	s_cbranch_execnz .LBB4_161
.LBB4_89:
	s_or_b32 exec_lo, exec_lo, s2
	s_delay_alu instid0(SALU_CYCLE_1)
	s_mov_b32 s2, exec_lo
	v_cmpx_gt_u32_e64 s14, v34
	s_cbranch_execnz .LBB4_162
.LBB4_90:
	s_or_b32 exec_lo, exec_lo, s2
	s_delay_alu instid0(SALU_CYCLE_1)
	s_mov_b32 s2, exec_lo
	v_cmpx_gt_u32_e64 s14, v33
	s_cbranch_execz .LBB4_92
.LBB4_91:
	s_waitcnt lgkmcnt(0)
	global_store_b32 v[2:3], v19, off offset:3840
.LBB4_92:
	s_or_b32 exec_lo, exec_lo, s2
	s_load_b32 s0, s[0:1], 0x40
	s_waitcnt lgkmcnt(0)
	s_bfe_u32 s0, s0, 0x10008
	s_delay_alu instid0(SALU_CYCLE_1)
	s_cmp_eq_u32 s0, 0
	s_cbranch_scc1 .LBB4_147
; %bb.93:
	s_add_u32 s0, s14, -1
	s_addc_u32 s1, s33, -1
	s_delay_alu instid0(SALU_CYCLE_1)
	s_lshr_b64 s[2:3], s[0:1], 4
	s_mov_b32 s1, exec_lo
	v_cmpx_eq_u64_e64 s[2:3], v[0:1]
	s_cbranch_execz .LBB4_147
; %bb.94:
	s_and_b32 s0, s0, 15
	s_mov_b32 s1, 0
	s_delay_alu instid0(SALU_CYCLE_1) | instskip(NEXT) | instid1(VALU_DEP_1)
	v_cmp_lt_i64_e64 s2, s[0:1], 8
	s_and_b32 vcc_lo, exec_lo, s2
	s_mov_b32 s2, -1
	s_cbranch_vccnz .LBB4_121
; %bb.95:
	v_cmp_lt_i64_e64 s2, s[0:1], 12
	s_delay_alu instid0(VALU_DEP_1)
	s_and_b32 vcc_lo, exec_lo, s2
	s_mov_b32 s2, -1
	s_cbranch_vccnz .LBB4_108
; %bb.96:
	v_cmp_lt_i64_e64 s2, s[0:1], 14
	s_delay_alu instid0(VALU_DEP_1)
	s_and_b32 vcc_lo, exec_lo, s2
	s_mov_b32 s2, -1
	s_cbranch_vccnz .LBB4_102
; %bb.97:
	v_cmp_gt_i64_e64 s2, s[0:1], 14
	s_delay_alu instid0(VALU_DEP_1)
	s_and_b32 vcc_lo, exec_lo, s2
	s_mov_b32 s2, -1
	s_cbranch_vccz .LBB4_99
; %bb.98:
	v_mov_b32_e32 v0, 0
	s_mov_b32 s2, 0
	global_store_b32 v0, v19, s[10:11]
.LBB4_99:
	s_and_not1_b32 vcc_lo, exec_lo, s2
	s_cbranch_vccnz .LBB4_101
; %bb.100:
	v_mov_b32_e32 v0, 0
	global_store_b32 v0, v18, s[10:11]
.LBB4_101:
	s_mov_b32 s2, 0
.LBB4_102:
	s_delay_alu instid0(SALU_CYCLE_1)
	s_and_not1_b32 vcc_lo, exec_lo, s2
	s_cbranch_vccnz .LBB4_107
; %bb.103:
	v_cmp_gt_i64_e64 s2, s[0:1], 12
	s_delay_alu instid0(VALU_DEP_1)
	s_and_b32 vcc_lo, exec_lo, s2
	s_mov_b32 s2, -1
	s_cbranch_vccz .LBB4_105
; %bb.104:
	v_mov_b32_e32 v0, 0
	s_mov_b32 s2, 0
	global_store_b32 v0, v17, s[10:11]
.LBB4_105:
	s_and_not1_b32 vcc_lo, exec_lo, s2
	s_cbranch_vccnz .LBB4_107
; %bb.106:
	v_mov_b32_e32 v0, 0
	global_store_b32 v0, v16, s[10:11]
.LBB4_107:
	s_mov_b32 s2, 0
.LBB4_108:
	s_delay_alu instid0(SALU_CYCLE_1)
	s_and_not1_b32 vcc_lo, exec_lo, s2
	s_cbranch_vccnz .LBB4_120
; %bb.109:
	v_cmp_lt_i64_e64 s2, s[0:1], 10
	s_delay_alu instid0(VALU_DEP_1)
	s_and_b32 vcc_lo, exec_lo, s2
	s_mov_b32 s2, -1
	s_cbranch_vccnz .LBB4_115
; %bb.110:
	v_cmp_gt_i64_e64 s2, s[0:1], 10
	s_delay_alu instid0(VALU_DEP_1)
	s_and_b32 vcc_lo, exec_lo, s2
	s_mov_b32 s2, -1
	s_cbranch_vccz .LBB4_112
; %bb.111:
	v_mov_b32_e32 v0, 0
	s_mov_b32 s2, 0
	global_store_b32 v0, v15, s[10:11]
.LBB4_112:
	s_and_not1_b32 vcc_lo, exec_lo, s2
	s_cbranch_vccnz .LBB4_114
; %bb.113:
	v_mov_b32_e32 v0, 0
	global_store_b32 v0, v14, s[10:11]
.LBB4_114:
	s_mov_b32 s2, 0
.LBB4_115:
	s_delay_alu instid0(SALU_CYCLE_1)
	s_and_not1_b32 vcc_lo, exec_lo, s2
	s_cbranch_vccnz .LBB4_120
; %bb.116:
	v_cmp_gt_i64_e64 s2, s[0:1], 8
	s_delay_alu instid0(VALU_DEP_1)
	s_and_b32 vcc_lo, exec_lo, s2
	s_mov_b32 s2, -1
	s_cbranch_vccz .LBB4_118
; %bb.117:
	v_mov_b32_e32 v0, 0
	s_mov_b32 s2, 0
	global_store_b32 v0, v13, s[10:11]
.LBB4_118:
	s_and_not1_b32 vcc_lo, exec_lo, s2
	s_cbranch_vccnz .LBB4_120
; %bb.119:
	v_mov_b32_e32 v0, 0
	global_store_b32 v0, v12, s[10:11]
.LBB4_120:
	s_mov_b32 s2, 0
.LBB4_121:
	s_delay_alu instid0(SALU_CYCLE_1)
	s_and_not1_b32 vcc_lo, exec_lo, s2
	s_cbranch_vccnz .LBB4_147
; %bb.122:
	v_cmp_lt_i64_e64 s2, s[0:1], 4
	s_delay_alu instid0(VALU_DEP_1)
	s_and_b32 vcc_lo, exec_lo, s2
	s_mov_b32 s2, -1
	s_cbranch_vccnz .LBB4_135
; %bb.123:
	v_cmp_lt_i64_e64 s2, s[0:1], 6
	s_delay_alu instid0(VALU_DEP_1)
	s_and_b32 vcc_lo, exec_lo, s2
	s_mov_b32 s2, -1
	s_cbranch_vccnz .LBB4_129
; %bb.124:
	v_cmp_gt_i64_e64 s2, s[0:1], 6
	s_delay_alu instid0(VALU_DEP_1)
	s_and_b32 vcc_lo, exec_lo, s2
	s_mov_b32 s2, -1
	s_cbranch_vccz .LBB4_126
; %bb.125:
	v_mov_b32_e32 v0, 0
	s_mov_b32 s2, 0
	global_store_b32 v0, v11, s[10:11]
.LBB4_126:
	s_and_not1_b32 vcc_lo, exec_lo, s2
	s_cbranch_vccnz .LBB4_128
; %bb.127:
	v_mov_b32_e32 v0, 0
	global_store_b32 v0, v10, s[10:11]
.LBB4_128:
	s_mov_b32 s2, 0
.LBB4_129:
	s_delay_alu instid0(SALU_CYCLE_1)
	s_and_not1_b32 vcc_lo, exec_lo, s2
	s_cbranch_vccnz .LBB4_134
; %bb.130:
	v_cmp_gt_i64_e64 s2, s[0:1], 4
	s_delay_alu instid0(VALU_DEP_1)
	s_and_b32 vcc_lo, exec_lo, s2
	s_mov_b32 s2, -1
	s_cbranch_vccz .LBB4_132
; %bb.131:
	v_mov_b32_e32 v0, 0
	s_mov_b32 s2, 0
	global_store_b32 v0, v9, s[10:11]
.LBB4_132:
	s_and_not1_b32 vcc_lo, exec_lo, s2
	s_cbranch_vccnz .LBB4_134
; %bb.133:
	v_mov_b32_e32 v0, 0
	global_store_b32 v0, v8, s[10:11]
.LBB4_134:
	s_mov_b32 s2, 0
.LBB4_135:
	s_delay_alu instid0(SALU_CYCLE_1)
	s_and_not1_b32 vcc_lo, exec_lo, s2
	s_cbranch_vccnz .LBB4_147
; %bb.136:
	v_cmp_lt_i64_e64 s2, s[0:1], 2
	s_delay_alu instid0(VALU_DEP_1)
	s_and_b32 vcc_lo, exec_lo, s2
	s_mov_b32 s2, -1
	s_cbranch_vccnz .LBB4_142
; %bb.137:
	v_cmp_gt_i64_e64 s2, s[0:1], 2
	s_delay_alu instid0(VALU_DEP_1)
	s_and_b32 vcc_lo, exec_lo, s2
	s_mov_b32 s2, -1
	s_cbranch_vccz .LBB4_139
; %bb.138:
	v_mov_b32_e32 v0, 0
	s_mov_b32 s2, 0
	global_store_b32 v0, v7, s[10:11]
.LBB4_139:
	s_and_not1_b32 vcc_lo, exec_lo, s2
	s_cbranch_vccnz .LBB4_141
; %bb.140:
	v_mov_b32_e32 v0, 0
	global_store_b32 v0, v6, s[10:11]
.LBB4_141:
	s_mov_b32 s2, 0
.LBB4_142:
	s_delay_alu instid0(SALU_CYCLE_1)
	s_and_not1_b32 vcc_lo, exec_lo, s2
	s_cbranch_vccnz .LBB4_147
; %bb.143:
	s_cmp_eq_u64 s[0:1], 1
	s_mov_b32 s0, -1
	s_cbranch_scc1 .LBB4_145
; %bb.144:
	v_mov_b32_e32 v0, 0
	s_mov_b32 s0, 0
	global_store_b32 v0, v5, s[10:11]
.LBB4_145:
	s_and_not1_b32 vcc_lo, exec_lo, s0
	s_cbranch_vccnz .LBB4_147
; %bb.146:
	v_mov_b32_e32 v0, 0
	global_store_b32 v0, v4, s[10:11]
.LBB4_147:
	s_nop 0
	s_sendmsg sendmsg(MSG_DEALLOC_VGPRS)
	s_endpgm
.LBB4_148:
	s_waitcnt lgkmcnt(15)
	global_store_b32 v[2:3], v5, off
	s_or_b32 exec_lo, exec_lo, s2
	s_delay_alu instid0(SALU_CYCLE_1)
	s_mov_b32 s2, exec_lo
	v_cmpx_gt_u32_e64 s14, v47
	s_cbranch_execz .LBB4_77
.LBB4_149:
	s_waitcnt lgkmcnt(14)
	global_store_b32 v[2:3], v4, off offset:256
	s_or_b32 exec_lo, exec_lo, s2
	s_delay_alu instid0(SALU_CYCLE_1)
	s_mov_b32 s2, exec_lo
	v_cmpx_gt_u32_e64 s14, v46
	s_cbranch_execz .LBB4_78
.LBB4_150:
	s_waitcnt lgkmcnt(13)
	global_store_b32 v[2:3], v6, off offset:512
	s_or_b32 exec_lo, exec_lo, s2
	s_delay_alu instid0(SALU_CYCLE_1)
	s_mov_b32 s2, exec_lo
	v_cmpx_gt_u32_e64 s14, v45
	s_cbranch_execz .LBB4_79
.LBB4_151:
	s_waitcnt lgkmcnt(12)
	global_store_b32 v[2:3], v7, off offset:768
	s_or_b32 exec_lo, exec_lo, s2
	s_delay_alu instid0(SALU_CYCLE_1)
	s_mov_b32 s2, exec_lo
	v_cmpx_gt_u32_e64 s14, v44
	s_cbranch_execz .LBB4_80
.LBB4_152:
	s_waitcnt lgkmcnt(11)
	global_store_b32 v[2:3], v8, off offset:1024
	s_or_b32 exec_lo, exec_lo, s2
	s_delay_alu instid0(SALU_CYCLE_1)
	s_mov_b32 s2, exec_lo
	v_cmpx_gt_u32_e64 s14, v43
	s_cbranch_execz .LBB4_81
.LBB4_153:
	s_waitcnt lgkmcnt(10)
	global_store_b32 v[2:3], v9, off offset:1280
	s_or_b32 exec_lo, exec_lo, s2
	s_delay_alu instid0(SALU_CYCLE_1)
	s_mov_b32 s2, exec_lo
	v_cmpx_gt_u32_e64 s14, v42
	s_cbranch_execz .LBB4_82
.LBB4_154:
	s_waitcnt lgkmcnt(9)
	global_store_b32 v[2:3], v10, off offset:1536
	s_or_b32 exec_lo, exec_lo, s2
	s_delay_alu instid0(SALU_CYCLE_1)
	s_mov_b32 s2, exec_lo
	v_cmpx_gt_u32_e64 s14, v41
	s_cbranch_execz .LBB4_83
.LBB4_155:
	s_waitcnt lgkmcnt(8)
	global_store_b32 v[2:3], v11, off offset:1792
	s_or_b32 exec_lo, exec_lo, s2
	s_delay_alu instid0(SALU_CYCLE_1)
	s_mov_b32 s2, exec_lo
	v_cmpx_gt_u32_e64 s14, v40
	s_cbranch_execz .LBB4_84
.LBB4_156:
	s_waitcnt lgkmcnt(7)
	global_store_b32 v[2:3], v12, off offset:2048
	s_or_b32 exec_lo, exec_lo, s2
	s_delay_alu instid0(SALU_CYCLE_1)
	s_mov_b32 s2, exec_lo
	v_cmpx_gt_u32_e64 s14, v39
	s_cbranch_execz .LBB4_85
.LBB4_157:
	s_waitcnt lgkmcnt(6)
	global_store_b32 v[2:3], v13, off offset:2304
	s_or_b32 exec_lo, exec_lo, s2
	s_delay_alu instid0(SALU_CYCLE_1)
	s_mov_b32 s2, exec_lo
	v_cmpx_gt_u32_e64 s14, v38
	s_cbranch_execz .LBB4_86
.LBB4_158:
	s_waitcnt lgkmcnt(5)
	global_store_b32 v[2:3], v14, off offset:2560
	s_or_b32 exec_lo, exec_lo, s2
	s_delay_alu instid0(SALU_CYCLE_1)
	s_mov_b32 s2, exec_lo
	v_cmpx_gt_u32_e64 s14, v37
	s_cbranch_execz .LBB4_87
.LBB4_159:
	s_waitcnt lgkmcnt(4)
	global_store_b32 v[2:3], v15, off offset:2816
	s_or_b32 exec_lo, exec_lo, s2
	s_delay_alu instid0(SALU_CYCLE_1)
	s_mov_b32 s2, exec_lo
	v_cmpx_gt_u32_e64 s14, v36
	s_cbranch_execz .LBB4_88
.LBB4_160:
	s_waitcnt lgkmcnt(3)
	global_store_b32 v[2:3], v16, off offset:3072
	s_or_b32 exec_lo, exec_lo, s2
	s_delay_alu instid0(SALU_CYCLE_1)
	s_mov_b32 s2, exec_lo
	v_cmpx_gt_u32_e64 s14, v35
	s_cbranch_execz .LBB4_89
.LBB4_161:
	s_waitcnt lgkmcnt(2)
	global_store_b32 v[2:3], v17, off offset:3328
	s_or_b32 exec_lo, exec_lo, s2
	s_delay_alu instid0(SALU_CYCLE_1)
	s_mov_b32 s2, exec_lo
	v_cmpx_gt_u32_e64 s14, v34
	s_cbranch_execz .LBB4_90
.LBB4_162:
	s_waitcnt lgkmcnt(1)
	global_store_b32 v[2:3], v18, off offset:3584
	s_or_b32 exec_lo, exec_lo, s2
	s_delay_alu instid0(SALU_CYCLE_1)
	s_mov_b32 s2, exec_lo
	v_cmpx_gt_u32_e64 s14, v33
	s_cbranch_execnz .LBB4_91
	s_branch .LBB4_92
	.section	.rodata,"a",@progbits
	.p2align	6, 0x0
	.amdhsa_kernel _ZN7rocprim6detail20lookback_scan_kernelILNS0_25lookback_scan_determinismE0ELb1ENS0_19wrapped_scan_configINS_14default_configEjEEPjS6_N6thrust4plusIvEEjjNS0_19lookback_scan_stateIjLb0ELb1EEEEEvT2_T3_mT5_T4_T7_jPT6_SI_bb
		.amdhsa_group_segment_fixed_size 4224
		.amdhsa_private_segment_fixed_size 0
		.amdhsa_kernarg_size 68
		.amdhsa_user_sgpr_count 15
		.amdhsa_user_sgpr_dispatch_ptr 0
		.amdhsa_user_sgpr_queue_ptr 0
		.amdhsa_user_sgpr_kernarg_segment_ptr 1
		.amdhsa_user_sgpr_dispatch_id 0
		.amdhsa_user_sgpr_private_segment_size 0
		.amdhsa_wavefront_size32 1
		.amdhsa_uses_dynamic_stack 0
		.amdhsa_enable_private_segment 0
		.amdhsa_system_sgpr_workgroup_id_x 1
		.amdhsa_system_sgpr_workgroup_id_y 0
		.amdhsa_system_sgpr_workgroup_id_z 0
		.amdhsa_system_sgpr_workgroup_info 0
		.amdhsa_system_vgpr_workitem_id 0
		.amdhsa_next_free_vgpr 57
		.amdhsa_next_free_sgpr 35
		.amdhsa_reserve_vcc 1
		.amdhsa_float_round_mode_32 0
		.amdhsa_float_round_mode_16_64 0
		.amdhsa_float_denorm_mode_32 3
		.amdhsa_float_denorm_mode_16_64 3
		.amdhsa_dx10_clamp 1
		.amdhsa_ieee_mode 1
		.amdhsa_fp16_overflow 0
		.amdhsa_workgroup_processor_mode 1
		.amdhsa_memory_ordered 1
		.amdhsa_forward_progress 0
		.amdhsa_shared_vgpr_count 0
		.amdhsa_exception_fp_ieee_invalid_op 0
		.amdhsa_exception_fp_denorm_src 0
		.amdhsa_exception_fp_ieee_div_zero 0
		.amdhsa_exception_fp_ieee_overflow 0
		.amdhsa_exception_fp_ieee_underflow 0
		.amdhsa_exception_fp_ieee_inexact 0
		.amdhsa_exception_int_div_zero 0
	.end_amdhsa_kernel
	.section	.text._ZN7rocprim6detail20lookback_scan_kernelILNS0_25lookback_scan_determinismE0ELb1ENS0_19wrapped_scan_configINS_14default_configEjEEPjS6_N6thrust4plusIvEEjjNS0_19lookback_scan_stateIjLb0ELb1EEEEEvT2_T3_mT5_T4_T7_jPT6_SI_bb,"axG",@progbits,_ZN7rocprim6detail20lookback_scan_kernelILNS0_25lookback_scan_determinismE0ELb1ENS0_19wrapped_scan_configINS_14default_configEjEEPjS6_N6thrust4plusIvEEjjNS0_19lookback_scan_stateIjLb0ELb1EEEEEvT2_T3_mT5_T4_T7_jPT6_SI_bb,comdat
.Lfunc_end4:
	.size	_ZN7rocprim6detail20lookback_scan_kernelILNS0_25lookback_scan_determinismE0ELb1ENS0_19wrapped_scan_configINS_14default_configEjEEPjS6_N6thrust4plusIvEEjjNS0_19lookback_scan_stateIjLb0ELb1EEEEEvT2_T3_mT5_T4_T7_jPT6_SI_bb, .Lfunc_end4-_ZN7rocprim6detail20lookback_scan_kernelILNS0_25lookback_scan_determinismE0ELb1ENS0_19wrapped_scan_configINS_14default_configEjEEPjS6_N6thrust4plusIvEEjjNS0_19lookback_scan_stateIjLb0ELb1EEEEEvT2_T3_mT5_T4_T7_jPT6_SI_bb
                                        ; -- End function
	.section	.AMDGPU.csdata,"",@progbits
; Kernel info:
; codeLenInByte = 7444
; NumSgprs: 37
; NumVgprs: 57
; ScratchSize: 0
; MemoryBound: 0
; FloatMode: 240
; IeeeMode: 1
; LDSByteSize: 4224 bytes/workgroup (compile time only)
; SGPRBlocks: 4
; VGPRBlocks: 7
; NumSGPRsForWavesPerEU: 37
; NumVGPRsForWavesPerEU: 57
; Occupancy: 16
; WaveLimiterHint : 1
; COMPUTE_PGM_RSRC2:SCRATCH_EN: 0
; COMPUTE_PGM_RSRC2:USER_SGPR: 15
; COMPUTE_PGM_RSRC2:TRAP_HANDLER: 0
; COMPUTE_PGM_RSRC2:TGID_X_EN: 1
; COMPUTE_PGM_RSRC2:TGID_Y_EN: 0
; COMPUTE_PGM_RSRC2:TGID_Z_EN: 0
; COMPUTE_PGM_RSRC2:TIDIG_COMP_CNT: 0
	.section	.text._ZN7rocprim6detail16transform_kernelINS0_24wrapped_transform_configINS_14default_configEjEEjPjS5_NS_8identityIjEEEEvT1_mT2_T3_,"axG",@progbits,_ZN7rocprim6detail16transform_kernelINS0_24wrapped_transform_configINS_14default_configEjEEjPjS5_NS_8identityIjEEEEvT1_mT2_T3_,comdat
	.protected	_ZN7rocprim6detail16transform_kernelINS0_24wrapped_transform_configINS_14default_configEjEEjPjS5_NS_8identityIjEEEEvT1_mT2_T3_ ; -- Begin function _ZN7rocprim6detail16transform_kernelINS0_24wrapped_transform_configINS_14default_configEjEEjPjS5_NS_8identityIjEEEEvT1_mT2_T3_
	.globl	_ZN7rocprim6detail16transform_kernelINS0_24wrapped_transform_configINS_14default_configEjEEjPjS5_NS_8identityIjEEEEvT1_mT2_T3_
	.p2align	8
	.type	_ZN7rocprim6detail16transform_kernelINS0_24wrapped_transform_configINS_14default_configEjEEjPjS5_NS_8identityIjEEEEvT1_mT2_T3_,@function
_ZN7rocprim6detail16transform_kernelINS0_24wrapped_transform_configINS_14default_configEjEEjPjS5_NS_8identityIjEEEEvT1_mT2_T3_: ; @_ZN7rocprim6detail16transform_kernelINS0_24wrapped_transform_configINS_14default_configEjEEjPjS5_NS_8identityIjEEEEvT1_mT2_T3_
; %bb.0:
	s_clause 0x2
	s_load_b32 s2, s[0:1], 0x20
	s_load_b128 s[4:7], s[0:1], 0x0
	s_load_b64 s[16:17], s[0:1], 0x10
	s_mov_b32 s21, 0
	s_lshl_b32 s20, s15, 12
	v_lshlrev_b32_e32 v3, 2, v0
	s_lshl_b64 s[18:19], s[20:21], 2
	s_waitcnt lgkmcnt(0)
	s_add_i32 s2, s2, -1
	s_add_u32 s0, s4, s18
	s_addc_u32 s1, s5, s19
	v_add_co_u32 v1, s0, s0, v3
	s_delay_alu instid0(VALU_DEP_1)
	v_add_co_ci_u32_e64 v2, null, s1, 0, s0
	s_cmp_lg_u32 s15, s2
	s_mov_b32 s0, -1
	s_cbranch_scc0 .LBB5_2
; %bb.1:
	v_add_co_u32 v4, vcc_lo, 0x1000, v1
	v_add_co_ci_u32_e32 v5, vcc_lo, 0, v2, vcc_lo
	v_add_co_u32 v6, vcc_lo, v1, 0x2000
	v_add_co_ci_u32_e32 v7, vcc_lo, 0, v2, vcc_lo
	;; [unrolled: 2-line block ×3, first 2 shown]
	v_add_co_u32 v10, vcc_lo, 0x3000, v1
	global_load_b32 v13, v[6:7], off
	v_add_co_ci_u32_e32 v11, vcc_lo, 0, v2, vcc_lo
	s_clause 0xe
	global_load_b32 v14, v[1:2], off
	global_load_b32 v15, v[1:2], off offset:1024
	global_load_b32 v16, v[1:2], off offset:2048
	;; [unrolled: 1-line block ×9, first 2 shown]
	global_load_b32 v24, v[10:11], off
	global_load_b32 v25, v[10:11], off offset:1024
	global_load_b32 v26, v[6:7], off offset:-4096
	global_load_b32 v27, v[10:11], off offset:2048
	global_load_b32 v4, v[10:11], off offset:3072
	s_add_u32 s2, s16, s18
	s_addc_u32 s3, s17, s19
	v_add_co_u32 v11, s1, s2, v3
	s_delay_alu instid0(VALU_DEP_1) | instskip(NEXT) | instid1(VALU_DEP_2)
	v_add_co_ci_u32_e64 v12, null, s3, 0, s1
	v_add_co_u32 v5, vcc_lo, 0x1000, v11
	s_delay_alu instid0(VALU_DEP_2)
	v_add_co_ci_u32_e32 v6, vcc_lo, 0, v12, vcc_lo
	v_add_co_u32 v7, vcc_lo, v11, 0x2000
	v_add_co_ci_u32_e32 v8, vcc_lo, 0, v12, vcc_lo
	v_add_co_u32 v9, vcc_lo, 0x2000, v11
	;; [unrolled: 2-line block ×3, first 2 shown]
	s_mov_b32 s21, -1
	v_add_co_ci_u32_e32 v12, vcc_lo, 0, v12, vcc_lo
	s_waitcnt vmcnt(15)
	global_store_b32 v[7:8], v13, off
	s_waitcnt vmcnt(14)
	global_store_b32 v3, v14, s[2:3]
	s_waitcnt vmcnt(13)
	global_store_b32 v3, v15, s[2:3] offset:1024
	s_waitcnt vmcnt(12)
	global_store_b32 v3, v16, s[2:3] offset:2048
	;; [unrolled: 2-line block ×3, first 2 shown]
	s_waitcnt vmcnt(10)
	global_store_b32 v[5:6], v18, off offset:1024
	s_waitcnt vmcnt(9)
	global_store_b32 v[5:6], v19, off offset:2048
	;; [unrolled: 2-line block ×6, first 2 shown]
	s_waitcnt vmcnt(4)
	global_store_b32 v[11:12], v24, off
	s_waitcnt vmcnt(3)
	global_store_b32 v[11:12], v25, off offset:1024
	s_waitcnt vmcnt(2)
	global_store_b32 v[7:8], v26, off offset:-4096
	s_waitcnt vmcnt(1)
	global_store_b32 v[11:12], v27, off offset:2048
	s_cbranch_execz .LBB5_3
	s_branch .LBB5_52
.LBB5_2:
                                        ; implicit-def: $vgpr4
	s_and_not1_b32 vcc_lo, exec_lo, s0
	s_cbranch_vccnz .LBB5_52
.LBB5_3:
	s_sub_i32 s15, s6, s20
                                        ; implicit-def: $vgpr5
	s_delay_alu instid0(SALU_CYCLE_1)
	v_cmp_gt_u32_e32 vcc_lo, s15, v0
	s_and_saveexec_b32 s0, vcc_lo
	s_cbranch_execz .LBB5_5
; %bb.4:
	global_load_b32 v5, v[1:2], off
.LBB5_5:
	s_or_b32 exec_lo, exec_lo, s0
	s_waitcnt vmcnt(0)
	v_or_b32_e32 v4, 0x100, v0
                                        ; implicit-def: $vgpr6
	s_delay_alu instid0(VALU_DEP_1) | instskip(NEXT) | instid1(VALU_DEP_1)
	v_cmp_gt_u32_e64 s0, s15, v4
	s_and_saveexec_b32 s1, s0
	s_cbranch_execz .LBB5_7
; %bb.6:
	global_load_b32 v6, v[1:2], off offset:1024
.LBB5_7:
	s_or_b32 exec_lo, exec_lo, s1
	v_or_b32_e32 v4, 0x200, v0
                                        ; implicit-def: $vgpr7
	s_delay_alu instid0(VALU_DEP_1) | instskip(NEXT) | instid1(VALU_DEP_1)
	v_cmp_gt_u32_e64 s1, s15, v4
	s_and_saveexec_b32 s2, s1
	s_cbranch_execz .LBB5_9
; %bb.8:
	global_load_b32 v7, v[1:2], off offset:2048
.LBB5_9:
	s_or_b32 exec_lo, exec_lo, s2
	v_or_b32_e32 v4, 0x300, v0
                                        ; implicit-def: $vgpr8
	s_delay_alu instid0(VALU_DEP_1) | instskip(NEXT) | instid1(VALU_DEP_1)
	v_cmp_gt_u32_e64 s2, s15, v4
	s_and_saveexec_b32 s3, s2
	s_cbranch_execz .LBB5_11
; %bb.10:
	global_load_b32 v8, v[1:2], off offset:3072
.LBB5_11:
	s_or_b32 exec_lo, exec_lo, s3
	v_or_b32_e32 v4, 0x400, v0
                                        ; implicit-def: $vgpr9
	s_delay_alu instid0(VALU_DEP_1) | instskip(NEXT) | instid1(VALU_DEP_1)
	v_cmp_gt_u32_e64 s3, s15, v4
	s_and_saveexec_b32 s5, s3
	s_cbranch_execz .LBB5_13
; %bb.12:
	v_add_co_u32 v9, s4, 0x1000, v1
	s_delay_alu instid0(VALU_DEP_1)
	v_add_co_ci_u32_e64 v10, s4, 0, v2, s4
	global_load_b32 v9, v[9:10], off
.LBB5_13:
	s_or_b32 exec_lo, exec_lo, s5
	v_or_b32_e32 v4, 0x500, v0
                                        ; implicit-def: $vgpr10
	s_delay_alu instid0(VALU_DEP_1) | instskip(NEXT) | instid1(VALU_DEP_1)
	v_cmp_gt_u32_e64 s4, s15, v4
	s_and_saveexec_b32 s6, s4
	s_cbranch_execz .LBB5_15
; %bb.14:
	v_add_co_u32 v10, s5, 0x1000, v1
	s_delay_alu instid0(VALU_DEP_1)
	v_add_co_ci_u32_e64 v11, s5, 0, v2, s5
	global_load_b32 v10, v[10:11], off offset:1024
.LBB5_15:
	s_or_b32 exec_lo, exec_lo, s6
	v_or_b32_e32 v4, 0x600, v0
                                        ; implicit-def: $vgpr11
	s_delay_alu instid0(VALU_DEP_1) | instskip(NEXT) | instid1(VALU_DEP_1)
	v_cmp_gt_u32_e64 s5, s15, v4
	s_and_saveexec_b32 s7, s5
	s_cbranch_execz .LBB5_17
; %bb.16:
	v_add_co_u32 v11, s6, 0x1000, v1
	s_delay_alu instid0(VALU_DEP_1)
	v_add_co_ci_u32_e64 v12, s6, 0, v2, s6
	global_load_b32 v11, v[11:12], off offset:2048
.LBB5_17:
	s_or_b32 exec_lo, exec_lo, s7
	v_or_b32_e32 v4, 0x700, v0
                                        ; implicit-def: $vgpr12
	s_delay_alu instid0(VALU_DEP_1) | instskip(NEXT) | instid1(VALU_DEP_1)
	v_cmp_gt_u32_e64 s6, s15, v4
	s_and_saveexec_b32 s8, s6
	s_cbranch_execz .LBB5_19
; %bb.18:
	v_add_co_u32 v12, s7, 0x1000, v1
	s_delay_alu instid0(VALU_DEP_1)
	v_add_co_ci_u32_e64 v13, s7, 0, v2, s7
	global_load_b32 v12, v[12:13], off offset:3072
.LBB5_19:
	s_or_b32 exec_lo, exec_lo, s8
	v_or_b32_e32 v4, 0x800, v0
                                        ; implicit-def: $vgpr13
	s_delay_alu instid0(VALU_DEP_1) | instskip(NEXT) | instid1(VALU_DEP_1)
	v_cmp_gt_u32_e64 s7, s15, v4
	s_and_saveexec_b32 s9, s7
	s_cbranch_execz .LBB5_21
; %bb.20:
	v_add_co_u32 v13, s8, 0x2000, v1
	s_delay_alu instid0(VALU_DEP_1)
	v_add_co_ci_u32_e64 v14, s8, 0, v2, s8
	global_load_b32 v13, v[13:14], off
.LBB5_21:
	s_or_b32 exec_lo, exec_lo, s9
	v_or_b32_e32 v4, 0x900, v0
                                        ; implicit-def: $vgpr14
	s_delay_alu instid0(VALU_DEP_1) | instskip(NEXT) | instid1(VALU_DEP_1)
	v_cmp_gt_u32_e64 s8, s15, v4
	s_and_saveexec_b32 s10, s8
	s_cbranch_execz .LBB5_23
; %bb.22:
	v_add_co_u32 v14, s9, 0x2000, v1
	s_delay_alu instid0(VALU_DEP_1)
	v_add_co_ci_u32_e64 v15, s9, 0, v2, s9
	global_load_b32 v14, v[14:15], off offset:1024
.LBB5_23:
	s_or_b32 exec_lo, exec_lo, s10
	v_or_b32_e32 v4, 0xa00, v0
                                        ; implicit-def: $vgpr15
	s_delay_alu instid0(VALU_DEP_1) | instskip(NEXT) | instid1(VALU_DEP_1)
	v_cmp_gt_u32_e64 s9, s15, v4
	s_and_saveexec_b32 s11, s9
	s_cbranch_execz .LBB5_25
; %bb.24:
	v_add_co_u32 v15, s10, 0x2000, v1
	s_delay_alu instid0(VALU_DEP_1)
	v_add_co_ci_u32_e64 v16, s10, 0, v2, s10
	global_load_b32 v15, v[15:16], off offset:2048
.LBB5_25:
	s_or_b32 exec_lo, exec_lo, s11
	v_or_b32_e32 v4, 0xb00, v0
                                        ; implicit-def: $vgpr16
	s_delay_alu instid0(VALU_DEP_1) | instskip(NEXT) | instid1(VALU_DEP_1)
	v_cmp_gt_u32_e64 s10, s15, v4
	s_and_saveexec_b32 s12, s10
	s_cbranch_execz .LBB5_27
; %bb.26:
	v_add_co_u32 v16, s11, 0x2000, v1
	s_delay_alu instid0(VALU_DEP_1)
	v_add_co_ci_u32_e64 v17, s11, 0, v2, s11
	global_load_b32 v16, v[16:17], off offset:3072
.LBB5_27:
	s_or_b32 exec_lo, exec_lo, s12
	v_or_b32_e32 v4, 0xc00, v0
                                        ; implicit-def: $vgpr17
	s_delay_alu instid0(VALU_DEP_1) | instskip(NEXT) | instid1(VALU_DEP_1)
	v_cmp_gt_u32_e64 s11, s15, v4
	s_and_saveexec_b32 s13, s11
	s_cbranch_execz .LBB5_29
; %bb.28:
	v_add_co_u32 v17, s12, 0x3000, v1
	s_delay_alu instid0(VALU_DEP_1)
	v_add_co_ci_u32_e64 v18, s12, 0, v2, s12
	global_load_b32 v17, v[17:18], off
.LBB5_29:
	s_or_b32 exec_lo, exec_lo, s13
	v_or_b32_e32 v4, 0xd00, v0
                                        ; implicit-def: $vgpr18
	s_delay_alu instid0(VALU_DEP_1) | instskip(NEXT) | instid1(VALU_DEP_1)
	v_cmp_gt_u32_e64 s12, s15, v4
	s_and_saveexec_b32 s14, s12
	s_cbranch_execz .LBB5_31
; %bb.30:
	v_add_co_u32 v18, s13, 0x3000, v1
	s_delay_alu instid0(VALU_DEP_1)
	v_add_co_ci_u32_e64 v19, s13, 0, v2, s13
	global_load_b32 v18, v[18:19], off offset:1024
.LBB5_31:
	s_or_b32 exec_lo, exec_lo, s14
	v_or_b32_e32 v4, 0xe00, v0
                                        ; implicit-def: $vgpr19
	s_delay_alu instid0(VALU_DEP_1) | instskip(NEXT) | instid1(VALU_DEP_1)
	v_cmp_gt_u32_e64 s13, s15, v4
	s_and_saveexec_b32 s20, s13
	s_cbranch_execz .LBB5_33
; %bb.32:
	v_add_co_u32 v19, s14, 0x3000, v1
	s_delay_alu instid0(VALU_DEP_1)
	v_add_co_ci_u32_e64 v20, s14, 0, v2, s14
	global_load_b32 v19, v[19:20], off offset:2048
.LBB5_33:
	s_or_b32 exec_lo, exec_lo, s20
	v_or_b32_e32 v0, 0xf00, v0
                                        ; implicit-def: $vgpr4
	s_delay_alu instid0(VALU_DEP_1) | instskip(NEXT) | instid1(VALU_DEP_1)
	v_cmp_gt_u32_e64 s21, s15, v0
	s_and_saveexec_b32 s15, s21
	s_cbranch_execz .LBB5_35
; %bb.34:
	v_add_co_u32 v0, s14, 0x3000, v1
	s_delay_alu instid0(VALU_DEP_1)
	v_add_co_ci_u32_e64 v1, s14, 0, v2, s14
	global_load_b32 v4, v[0:1], off offset:3072
.LBB5_35:
	s_or_b32 exec_lo, exec_lo, s15
	s_add_u32 s14, s16, s18
	s_addc_u32 s15, s17, s19
	v_add_co_u32 v0, s14, s14, v3
	s_delay_alu instid0(VALU_DEP_1) | instskip(SKIP_1) | instid1(SALU_CYCLE_1)
	v_add_co_ci_u32_e64 v1, null, s15, 0, s14
	s_and_saveexec_b32 s14, vcc_lo
	s_xor_b32 s14, exec_lo, s14
	s_cbranch_execnz .LBB5_55
; %bb.36:
	s_or_b32 exec_lo, exec_lo, s14
	s_and_saveexec_b32 s14, s0
	s_cbranch_execnz .LBB5_56
.LBB5_37:
	s_or_b32 exec_lo, exec_lo, s14
	s_and_saveexec_b32 s0, s1
	s_cbranch_execnz .LBB5_57
.LBB5_38:
	s_or_b32 exec_lo, exec_lo, s0
	s_and_saveexec_b32 s0, s2
	s_cbranch_execnz .LBB5_58
.LBB5_39:
	s_or_b32 exec_lo, exec_lo, s0
	s_and_saveexec_b32 s0, s3
	s_cbranch_execnz .LBB5_59
.LBB5_40:
	s_or_b32 exec_lo, exec_lo, s0
	s_and_saveexec_b32 s0, s4
	s_cbranch_execnz .LBB5_60
.LBB5_41:
	s_or_b32 exec_lo, exec_lo, s0
	s_and_saveexec_b32 s0, s5
	s_cbranch_execnz .LBB5_61
.LBB5_42:
	s_or_b32 exec_lo, exec_lo, s0
	s_and_saveexec_b32 s0, s6
	s_cbranch_execnz .LBB5_62
.LBB5_43:
	s_or_b32 exec_lo, exec_lo, s0
	s_and_saveexec_b32 s0, s7
	s_cbranch_execnz .LBB5_63
.LBB5_44:
	s_or_b32 exec_lo, exec_lo, s0
	s_and_saveexec_b32 s0, s8
	s_cbranch_execnz .LBB5_64
.LBB5_45:
	s_or_b32 exec_lo, exec_lo, s0
	s_and_saveexec_b32 s0, s9
	s_cbranch_execnz .LBB5_65
.LBB5_46:
	s_or_b32 exec_lo, exec_lo, s0
	s_and_saveexec_b32 s0, s10
	s_cbranch_execnz .LBB5_66
.LBB5_47:
	s_or_b32 exec_lo, exec_lo, s0
	s_and_saveexec_b32 s0, s11
	s_cbranch_execnz .LBB5_67
.LBB5_48:
	s_or_b32 exec_lo, exec_lo, s0
	s_and_saveexec_b32 s0, s12
	s_cbranch_execnz .LBB5_68
.LBB5_49:
	s_or_b32 exec_lo, exec_lo, s0
	s_and_saveexec_b32 s0, s13
	s_cbranch_execz .LBB5_51
.LBB5_50:
	v_add_co_u32 v0, vcc_lo, 0x3000, v0
	v_add_co_ci_u32_e32 v1, vcc_lo, 0, v1, vcc_lo
	s_waitcnt vmcnt(0)
	global_store_b32 v[0:1], v19, off offset:2048
.LBB5_51:
	s_or_b32 exec_lo, exec_lo, s0
.LBB5_52:
	s_and_saveexec_b32 s0, s21
	s_cbranch_execnz .LBB5_54
; %bb.53:
	s_nop 0
	s_sendmsg sendmsg(MSG_DEALLOC_VGPRS)
	s_endpgm
.LBB5_54:
	s_add_u32 s0, s16, s18
	s_addc_u32 s1, s17, s19
	v_add_co_u32 v0, s0, s0, v3
	s_delay_alu instid0(VALU_DEP_1) | instskip(NEXT) | instid1(VALU_DEP_2)
	v_add_co_ci_u32_e64 v1, null, s1, 0, s0
	v_add_co_u32 v0, vcc_lo, 0x3000, v0
	s_delay_alu instid0(VALU_DEP_2)
	v_add_co_ci_u32_e32 v1, vcc_lo, 0, v1, vcc_lo
	s_waitcnt vmcnt(0)
	global_store_b32 v[0:1], v4, off offset:3072
	s_nop 0
	s_sendmsg sendmsg(MSG_DEALLOC_VGPRS)
	s_endpgm
.LBB5_55:
	global_store_b32 v[0:1], v5, off
	s_or_b32 exec_lo, exec_lo, s14
	s_and_saveexec_b32 s14, s0
	s_cbranch_execz .LBB5_37
.LBB5_56:
	s_waitcnt vmcnt(0)
	global_store_b32 v[0:1], v6, off offset:1024
	s_or_b32 exec_lo, exec_lo, s14
	s_and_saveexec_b32 s0, s1
	s_cbranch_execz .LBB5_38
.LBB5_57:
	s_waitcnt vmcnt(0)
	global_store_b32 v[0:1], v7, off offset:2048
	s_or_b32 exec_lo, exec_lo, s0
	s_and_saveexec_b32 s0, s2
	s_cbranch_execz .LBB5_39
.LBB5_58:
	s_waitcnt vmcnt(0)
	global_store_b32 v[0:1], v8, off offset:3072
	s_or_b32 exec_lo, exec_lo, s0
	s_and_saveexec_b32 s0, s3
	s_cbranch_execz .LBB5_40
.LBB5_59:
	v_add_co_u32 v5, vcc_lo, 0x1000, v0
	s_waitcnt vmcnt(0)
	v_add_co_ci_u32_e32 v6, vcc_lo, 0, v1, vcc_lo
	global_store_b32 v[5:6], v9, off
	s_or_b32 exec_lo, exec_lo, s0
	s_and_saveexec_b32 s0, s4
	s_cbranch_execz .LBB5_41
.LBB5_60:
	v_add_co_u32 v5, vcc_lo, 0x1000, v0
	s_waitcnt vmcnt(0)
	v_add_co_ci_u32_e32 v6, vcc_lo, 0, v1, vcc_lo
	global_store_b32 v[5:6], v10, off offset:1024
	s_or_b32 exec_lo, exec_lo, s0
	s_and_saveexec_b32 s0, s5
	s_cbranch_execz .LBB5_42
.LBB5_61:
	v_add_co_u32 v5, vcc_lo, 0x1000, v0
	s_waitcnt vmcnt(0)
	v_add_co_ci_u32_e32 v6, vcc_lo, 0, v1, vcc_lo
	global_store_b32 v[5:6], v11, off offset:2048
	s_or_b32 exec_lo, exec_lo, s0
	s_and_saveexec_b32 s0, s6
	s_cbranch_execz .LBB5_43
.LBB5_62:
	v_add_co_u32 v5, vcc_lo, 0x1000, v0
	s_waitcnt vmcnt(0)
	v_add_co_ci_u32_e32 v6, vcc_lo, 0, v1, vcc_lo
	global_store_b32 v[5:6], v12, off offset:3072
	s_or_b32 exec_lo, exec_lo, s0
	s_and_saveexec_b32 s0, s7
	s_cbranch_execz .LBB5_44
.LBB5_63:
	v_add_co_u32 v5, vcc_lo, 0x2000, v0
	s_waitcnt vmcnt(0)
	v_add_co_ci_u32_e32 v6, vcc_lo, 0, v1, vcc_lo
	global_store_b32 v[5:6], v13, off
	s_or_b32 exec_lo, exec_lo, s0
	s_and_saveexec_b32 s0, s8
	s_cbranch_execz .LBB5_45
.LBB5_64:
	v_add_co_u32 v5, vcc_lo, 0x2000, v0
	s_waitcnt vmcnt(0)
	v_add_co_ci_u32_e32 v6, vcc_lo, 0, v1, vcc_lo
	global_store_b32 v[5:6], v14, off offset:1024
	s_or_b32 exec_lo, exec_lo, s0
	s_and_saveexec_b32 s0, s9
	s_cbranch_execz .LBB5_46
.LBB5_65:
	v_add_co_u32 v5, vcc_lo, 0x2000, v0
	s_waitcnt vmcnt(0)
	v_add_co_ci_u32_e32 v6, vcc_lo, 0, v1, vcc_lo
	global_store_b32 v[5:6], v15, off offset:2048
	s_or_b32 exec_lo, exec_lo, s0
	s_and_saveexec_b32 s0, s10
	s_cbranch_execz .LBB5_47
.LBB5_66:
	v_add_co_u32 v5, vcc_lo, 0x2000, v0
	s_waitcnt vmcnt(0)
	v_add_co_ci_u32_e32 v6, vcc_lo, 0, v1, vcc_lo
	global_store_b32 v[5:6], v16, off offset:3072
	s_or_b32 exec_lo, exec_lo, s0
	s_and_saveexec_b32 s0, s11
	s_cbranch_execz .LBB5_48
.LBB5_67:
	v_add_co_u32 v5, vcc_lo, 0x3000, v0
	s_waitcnt vmcnt(0)
	v_add_co_ci_u32_e32 v6, vcc_lo, 0, v1, vcc_lo
	global_store_b32 v[5:6], v17, off
	s_or_b32 exec_lo, exec_lo, s0
	s_and_saveexec_b32 s0, s12
	s_cbranch_execz .LBB5_49
.LBB5_68:
	v_add_co_u32 v5, vcc_lo, 0x3000, v0
	s_waitcnt vmcnt(0)
	v_add_co_ci_u32_e32 v6, vcc_lo, 0, v1, vcc_lo
	global_store_b32 v[5:6], v18, off offset:1024
	s_or_b32 exec_lo, exec_lo, s0
	s_and_saveexec_b32 s0, s13
	s_cbranch_execnz .LBB5_50
	s_branch .LBB5_51
	.section	.rodata,"a",@progbits
	.p2align	6, 0x0
	.amdhsa_kernel _ZN7rocprim6detail16transform_kernelINS0_24wrapped_transform_configINS_14default_configEjEEjPjS5_NS_8identityIjEEEEvT1_mT2_T3_
		.amdhsa_group_segment_fixed_size 0
		.amdhsa_private_segment_fixed_size 0
		.amdhsa_kernarg_size 288
		.amdhsa_user_sgpr_count 15
		.amdhsa_user_sgpr_dispatch_ptr 0
		.amdhsa_user_sgpr_queue_ptr 0
		.amdhsa_user_sgpr_kernarg_segment_ptr 1
		.amdhsa_user_sgpr_dispatch_id 0
		.amdhsa_user_sgpr_private_segment_size 0
		.amdhsa_wavefront_size32 1
		.amdhsa_uses_dynamic_stack 0
		.amdhsa_enable_private_segment 0
		.amdhsa_system_sgpr_workgroup_id_x 1
		.amdhsa_system_sgpr_workgroup_id_y 0
		.amdhsa_system_sgpr_workgroup_id_z 0
		.amdhsa_system_sgpr_workgroup_info 0
		.amdhsa_system_vgpr_workitem_id 0
		.amdhsa_next_free_vgpr 28
		.amdhsa_next_free_sgpr 22
		.amdhsa_reserve_vcc 1
		.amdhsa_float_round_mode_32 0
		.amdhsa_float_round_mode_16_64 0
		.amdhsa_float_denorm_mode_32 3
		.amdhsa_float_denorm_mode_16_64 3
		.amdhsa_dx10_clamp 1
		.amdhsa_ieee_mode 1
		.amdhsa_fp16_overflow 0
		.amdhsa_workgroup_processor_mode 1
		.amdhsa_memory_ordered 1
		.amdhsa_forward_progress 0
		.amdhsa_shared_vgpr_count 0
		.amdhsa_exception_fp_ieee_invalid_op 0
		.amdhsa_exception_fp_denorm_src 0
		.amdhsa_exception_fp_ieee_div_zero 0
		.amdhsa_exception_fp_ieee_overflow 0
		.amdhsa_exception_fp_ieee_underflow 0
		.amdhsa_exception_fp_ieee_inexact 0
		.amdhsa_exception_int_div_zero 0
	.end_amdhsa_kernel
	.section	.text._ZN7rocprim6detail16transform_kernelINS0_24wrapped_transform_configINS_14default_configEjEEjPjS5_NS_8identityIjEEEEvT1_mT2_T3_,"axG",@progbits,_ZN7rocprim6detail16transform_kernelINS0_24wrapped_transform_configINS_14default_configEjEEjPjS5_NS_8identityIjEEEEvT1_mT2_T3_,comdat
.Lfunc_end5:
	.size	_ZN7rocprim6detail16transform_kernelINS0_24wrapped_transform_configINS_14default_configEjEEjPjS5_NS_8identityIjEEEEvT1_mT2_T3_, .Lfunc_end5-_ZN7rocprim6detail16transform_kernelINS0_24wrapped_transform_configINS_14default_configEjEEjPjS5_NS_8identityIjEEEEvT1_mT2_T3_
                                        ; -- End function
	.section	.AMDGPU.csdata,"",@progbits
; Kernel info:
; codeLenInByte = 2336
; NumSgprs: 24
; NumVgprs: 28
; ScratchSize: 0
; MemoryBound: 0
; FloatMode: 240
; IeeeMode: 1
; LDSByteSize: 0 bytes/workgroup (compile time only)
; SGPRBlocks: 2
; VGPRBlocks: 3
; NumSGPRsForWavesPerEU: 24
; NumVGPRsForWavesPerEU: 28
; Occupancy: 16
; WaveLimiterHint : 1
; COMPUTE_PGM_RSRC2:SCRATCH_EN: 0
; COMPUTE_PGM_RSRC2:USER_SGPR: 15
; COMPUTE_PGM_RSRC2:TRAP_HANDLER: 0
; COMPUTE_PGM_RSRC2:TGID_X_EN: 1
; COMPUTE_PGM_RSRC2:TGID_Y_EN: 0
; COMPUTE_PGM_RSRC2:TGID_Z_EN: 0
; COMPUTE_PGM_RSRC2:TIDIG_COMP_CNT: 0
	.section	.text._ZN7rocprim6detail18single_scan_kernelILb1ENS0_19wrapped_scan_configINS_14default_configEjEEPjS5_N6thrust4plusIvEEjjEEvT1_mT4_T2_T3_,"axG",@progbits,_ZN7rocprim6detail18single_scan_kernelILb1ENS0_19wrapped_scan_configINS_14default_configEjEEPjS5_N6thrust4plusIvEEjjEEvT1_mT4_T2_T3_,comdat
	.protected	_ZN7rocprim6detail18single_scan_kernelILb1ENS0_19wrapped_scan_configINS_14default_configEjEEPjS5_N6thrust4plusIvEEjjEEvT1_mT4_T2_T3_ ; -- Begin function _ZN7rocprim6detail18single_scan_kernelILb1ENS0_19wrapped_scan_configINS_14default_configEjEEPjS5_N6thrust4plusIvEEjjEEvT1_mT4_T2_T3_
	.globl	_ZN7rocprim6detail18single_scan_kernelILb1ENS0_19wrapped_scan_configINS_14default_configEjEEPjS5_N6thrust4plusIvEEjjEEvT1_mT4_T2_T3_
	.p2align	8
	.type	_ZN7rocprim6detail18single_scan_kernelILb1ENS0_19wrapped_scan_configINS_14default_configEjEEPjS5_N6thrust4plusIvEEjjEEvT1_mT4_T2_T3_,@function
_ZN7rocprim6detail18single_scan_kernelILb1ENS0_19wrapped_scan_configINS_14default_configEjEEPjS5_N6thrust4plusIvEEjjEEvT1_mT4_T2_T3_: ; @_ZN7rocprim6detail18single_scan_kernelILb1ENS0_19wrapped_scan_configINS_14default_configEjEEPjS5_N6thrust4plusIvEEjjEEvT1_mT4_T2_T3_
; %bb.0:
	s_load_b128 s[20:23], s[0:1], 0x0
	s_waitcnt lgkmcnt(0)
	s_load_b32 s4, s[20:21], 0x0
	v_cmp_gt_u32_e32 vcc_lo, s22, v0
	s_waitcnt lgkmcnt(0)
	s_mov_b32 s5, s4
	s_mov_b32 s6, s4
	;; [unrolled: 1-line block ×15, first 2 shown]
	v_lshlrev_b32_e32 v19, 2, v0
	v_dual_mov_b32 v1, s4 :: v_dual_mov_b32 v4, s7
	v_dual_mov_b32 v2, s5 :: v_dual_mov_b32 v3, s6
	v_mov_b32_e32 v6, s9
	s_delay_alu instid0(VALU_DEP_4) | instskip(NEXT) | instid1(VALU_DEP_1)
	v_add_co_u32 v17, s2, s20, v19
	v_add_co_ci_u32_e64 v18, null, s21, 0, s2
	v_dual_mov_b32 v5, s8 :: v_dual_mov_b32 v8, s11
	v_dual_mov_b32 v7, s10 :: v_dual_mov_b32 v10, s13
	;; [unrolled: 1-line block ×6, first 2 shown]
	s_and_saveexec_b32 s2, vcc_lo
	s_cbranch_execz .LBB6_2
; %bb.1:
	global_load_b32 v20, v[17:18], off
	v_dual_mov_b32 v1, s4 :: v_dual_mov_b32 v2, s5
	v_dual_mov_b32 v3, s6 :: v_dual_mov_b32 v4, s7
	v_dual_mov_b32 v5, s8 :: v_dual_mov_b32 v6, s9
	v_dual_mov_b32 v7, s10 :: v_dual_mov_b32 v8, s11
	v_dual_mov_b32 v9, s12 :: v_dual_mov_b32 v10, s13
	v_dual_mov_b32 v11, s14 :: v_dual_mov_b32 v12, s15
	v_dual_mov_b32 v13, s16 :: v_dual_mov_b32 v14, s17
	v_dual_mov_b32 v15, s18 :: v_dual_mov_b32 v16, s19
                                        ; kill: def $vgpr1 killed $vgpr20 killed $exec
.LBB6_2:
	s_or_b32 exec_lo, exec_lo, s2
	v_or_b32_e32 v1, 64, v0
	s_delay_alu instid0(VALU_DEP_1) | instskip(NEXT) | instid1(VALU_DEP_1)
	v_cmp_gt_u32_e64 s2, s22, v1
	s_and_saveexec_b32 s3, s2
	s_cbranch_execz .LBB6_4
; %bb.3:
	global_load_b32 v2, v[17:18], off offset:256
.LBB6_4:
	s_or_b32 exec_lo, exec_lo, s3
	v_or_b32_e32 v21, 0x80, v0
	s_delay_alu instid0(VALU_DEP_1) | instskip(NEXT) | instid1(VALU_DEP_1)
	v_cmp_gt_u32_e64 s3, s22, v21
	s_and_saveexec_b32 s4, s3
	s_cbranch_execz .LBB6_6
; %bb.5:
	global_load_b32 v3, v[17:18], off offset:512
.LBB6_6:
	;; [unrolled: 9-line block ×15, first 2 shown]
	s_or_b32 exec_lo, exec_lo, s17
	v_lshrrev_b32_e32 v17, 3, v0
	v_lshrrev_b32_e32 v1, 3, v1
	;; [unrolled: 1-line block ×5, first 2 shown]
	v_and_b32_e32 v17, 4, v17
	v_and_b32_e32 v1, 12, v1
	v_lshrrev_b32_e32 v23, 3, v24
	v_and_b32_e32 v24, 28, v18
	v_and_b32_e32 v22, 60, v22
	v_add_nc_u32_e32 v17, v17, v19
	v_add_nc_u32_e32 v18, v1, v19
	v_and_b32_e32 v1, 28, v21
	v_add_nc_u32_e32 v21, v24, v19
	v_add_nc_u32_e32 v22, v22, v19
	s_waitcnt vmcnt(0)
	ds_store_b32 v17, v20
	ds_store_b32 v18, v2 offset:256
	v_and_b32_e32 v2, 60, v23
	v_add_nc_u32_e32 v20, v1, v19
	v_lshrrev_b32_e32 v1, 3, v25
	ds_store_b32 v21, v3 offset:512
	v_lshrrev_b32_e32 v3, 3, v27
	v_add_nc_u32_e32 v23, v2, v19
	v_lshrrev_b32_e32 v2, 3, v26
	v_and_b32_e32 v1, 60, v1
	ds_store_b32 v20, v4 offset:768
	ds_store_b32 v22, v5 offset:1024
	v_and_b32_e32 v3, 0x7c, v3
	v_lshrrev_b32_e32 v4, 3, v28
	ds_store_b32 v23, v6 offset:1280
	v_add_nc_u32_e32 v24, v1, v19
	v_and_b32_e32 v1, 60, v2
	v_lshrrev_b32_e32 v2, 3, v29
	v_add_nc_u32_e32 v26, v3, v19
	v_lshrrev_b32_e32 v3, 3, v32
	v_and_b32_e32 v4, 0x7c, v4
	v_add_nc_u32_e32 v25, v1, v19
	v_and_b32_e32 v1, 0x7c, v2
	v_lshrrev_b32_e32 v2, 3, v30
	v_and_b32_e32 v3, 0x7c, v3
	v_add_nc_u32_e32 v27, v4, v19
	v_lshrrev_b32_e32 v4, 3, v33
	v_add_nc_u32_e32 v28, v1, v19
	v_and_b32_e32 v1, 0x7c, v2
	v_lshrrev_b32_e32 v2, 3, v31
	v_add_nc_u32_e32 v31, v3, v19
	v_lshrrev_b32_e32 v3, 1, v0
	v_and_b32_e32 v4, 0x7c, v4
	v_add_nc_u32_e32 v29, v1, v19
	v_and_b32_e32 v1, 0x7c, v2
	v_lshrrev_b32_e32 v2, 3, v34
	ds_store_b32 v24, v7 offset:1536
	v_add_nc_u32_e32 v32, v4, v19
	ds_store_b32 v25, v8 offset:1792
	v_add_nc_u32_e32 v30, v1, v19
	v_and_b32_e32 v1, 0x7c, v2
	v_lshlrev_b32_e32 v2, 4, v0
	ds_store_b32 v26, v9 offset:2048
	ds_store_b32 v27, v10 offset:2304
	ds_store_b32 v28, v11 offset:2560
	ds_store_b32 v29, v12 offset:2816
	v_add_nc_u32_e32 v33, v1, v19
	v_add_lshl_u32 v34, v3, v2, 2
	ds_store_b32 v30, v13 offset:3072
	ds_store_b32 v31, v14 offset:3328
	;; [unrolled: 1-line block ×3, first 2 shown]
	s_mov_b32 s18, exec_lo
	ds_store_b32 v33, v16 offset:3840
	s_waitcnt lgkmcnt(0)
	s_barrier
	buffer_gl0_inv
	ds_load_2addr_b32 v[9:10], v34 offset1:1
	ds_load_2addr_b32 v[5:6], v34 offset0:2 offset1:3
	ds_load_2addr_b32 v[3:4], v34 offset0:4 offset1:5
	;; [unrolled: 1-line block ×5, first 2 shown]
	s_waitcnt lgkmcnt(5)
	v_add_nc_u32_e32 v7, v10, v9
	s_waitcnt lgkmcnt(4)
	s_delay_alu instid0(VALU_DEP_1) | instskip(SKIP_1) | instid1(VALU_DEP_1)
	v_add3_u32 v7, v7, v5, v6
	s_waitcnt lgkmcnt(3)
	v_add3_u32 v35, v7, v3, v4
	ds_load_2addr_b32 v[15:16], v34 offset0:12 offset1:13
	ds_load_2addr_b32 v[7:8], v34 offset0:14 offset1:15
	s_waitcnt lgkmcnt(0)
	s_barrier
	buffer_gl0_inv
	v_add3_u32 v35, v35, v1, v2
	s_delay_alu instid0(VALU_DEP_1) | instskip(NEXT) | instid1(VALU_DEP_1)
	v_add3_u32 v35, v35, v11, v12
	v_add3_u32 v35, v35, v13, v14
	s_delay_alu instid0(VALU_DEP_1) | instskip(NEXT) | instid1(VALU_DEP_1)
	v_add3_u32 v35, v35, v15, v16
	v_add3_u32 v8, v35, v7, v8
	ds_store_b32 v17, v8
	s_waitcnt lgkmcnt(0)
	s_barrier
	buffer_gl0_inv
	v_cmpx_gt_u32_e32 32, v0
	s_cbranch_execz .LBB6_34
; %bb.33:
	v_lshrrev_b32_e32 v35, 2, v0
	v_mbcnt_lo_u32_b32 v38, -1, 0
	s_delay_alu instid0(VALU_DEP_2) | instskip(NEXT) | instid1(VALU_DEP_2)
	v_and_b32_e32 v35, 12, v35
	v_and_b32_e32 v40, 15, v38
	v_add_nc_u32_e32 v42, -1, v38
	s_delay_alu instid0(VALU_DEP_3) | instskip(NEXT) | instid1(VALU_DEP_3)
	v_lshl_or_b32 v37, v0, 3, v35
	v_cmp_ne_u32_e64 s17, 0, v40
	ds_load_2addr_b32 v[35:36], v37 offset1:1
	s_waitcnt lgkmcnt(0)
	v_add_nc_u32_e32 v39, v36, v35
	s_delay_alu instid0(VALU_DEP_1) | instskip(NEXT) | instid1(VALU_DEP_1)
	v_mov_b32_dpp v41, v39 row_shr:1 row_mask:0xf bank_mask:0xf
	v_cndmask_b32_e64 v41, 0, v41, s17
	v_cmp_lt_u32_e64 s17, 1, v40
	s_delay_alu instid0(VALU_DEP_2) | instskip(NEXT) | instid1(VALU_DEP_1)
	v_add_nc_u32_e32 v39, v41, v39
	v_mov_b32_dpp v41, v39 row_shr:2 row_mask:0xf bank_mask:0xf
	s_delay_alu instid0(VALU_DEP_1) | instskip(SKIP_1) | instid1(VALU_DEP_2)
	v_cndmask_b32_e64 v41, 0, v41, s17
	v_cmp_lt_u32_e64 s17, 3, v40
	v_add_nc_u32_e32 v39, v39, v41
	s_delay_alu instid0(VALU_DEP_1) | instskip(NEXT) | instid1(VALU_DEP_1)
	v_mov_b32_dpp v41, v39 row_shr:4 row_mask:0xf bank_mask:0xf
	v_cndmask_b32_e64 v41, 0, v41, s17
	v_cmp_lt_u32_e64 s17, 7, v40
	s_delay_alu instid0(VALU_DEP_2) | instskip(NEXT) | instid1(VALU_DEP_1)
	v_add_nc_u32_e32 v39, v39, v41
	v_mov_b32_dpp v41, v39 row_shr:8 row_mask:0xf bank_mask:0xf
	s_delay_alu instid0(VALU_DEP_1) | instskip(SKIP_2) | instid1(VALU_DEP_3)
	v_cndmask_b32_e64 v40, 0, v41, s17
	v_bfe_i32 v41, v38, 4, 1
	v_cmp_gt_i32_e64 s17, 0, v42
	v_add_nc_u32_e32 v39, v39, v40
	s_delay_alu instid0(VALU_DEP_2)
	v_cndmask_b32_e64 v38, v42, v38, s17
	v_cmp_eq_u32_e64 s17, 0, v0
	ds_swizzle_b32 v40, v39 offset:swizzle(BROADCAST,32,15)
	v_lshlrev_b32_e32 v38, 2, v38
	s_waitcnt lgkmcnt(0)
	v_and_b32_e32 v40, v41, v40
	s_delay_alu instid0(VALU_DEP_1) | instskip(SKIP_3) | instid1(VALU_DEP_1)
	v_add_nc_u32_e32 v39, v39, v40
	ds_bpermute_b32 v38, v38, v39
	s_waitcnt lgkmcnt(0)
	v_add_nc_u32_e32 v35, v38, v35
	v_cndmask_b32_e64 v8, v35, v8, s17
	s_delay_alu instid0(VALU_DEP_1)
	v_add_nc_u32_e32 v35, v8, v36
	ds_store_2addr_b32 v37, v8, v35 offset1:1
.LBB6_34:
	s_or_b32 exec_lo, exec_lo, s18
	s_load_b32 s18, s[0:1], 0x10
	s_mov_b32 s19, exec_lo
	s_waitcnt lgkmcnt(0)
	s_barrier
	buffer_gl0_inv
	v_mov_b32_e32 v8, s18
	v_cmpx_ne_u32_e32 0, v0
	s_cbranch_execz .LBB6_36
; %bb.35:
	v_add_nc_u32_e32 v0, -1, v0
	s_delay_alu instid0(VALU_DEP_1) | instskip(NEXT) | instid1(VALU_DEP_1)
	v_lshrrev_b32_e32 v8, 5, v0
	v_add_lshl_u32 v0, v8, v0, 2
	ds_load_b32 v0, v0
	s_waitcnt lgkmcnt(0)
	v_add_nc_u32_e32 v8, s18, v0
.LBB6_36:
	s_or_b32 exec_lo, exec_lo, s19
	s_delay_alu instid0(VALU_DEP_1) | instskip(SKIP_4) | instid1(VALU_DEP_1)
	v_add_nc_u32_e32 v0, v8, v9
	s_barrier
	buffer_gl0_inv
	s_load_b64 s[0:1], s[0:1], 0x18
	v_add_nc_u32_e32 v9, v0, v10
	v_add_nc_u32_e32 v5, v9, v5
	s_delay_alu instid0(VALU_DEP_1) | instskip(NEXT) | instid1(VALU_DEP_1)
	v_add_nc_u32_e32 v6, v5, v6
	v_add_nc_u32_e32 v3, v6, v3
	s_delay_alu instid0(VALU_DEP_1) | instskip(NEXT) | instid1(VALU_DEP_1)
	v_add_nc_u32_e32 v4, v3, v4
	v_add_nc_u32_e32 v1, v4, v1
	s_delay_alu instid0(VALU_DEP_1) | instskip(NEXT) | instid1(VALU_DEP_1)
	v_add_nc_u32_e32 v2, v1, v2
	v_add_nc_u32_e32 v10, v2, v11
	s_delay_alu instid0(VALU_DEP_1) | instskip(NEXT) | instid1(VALU_DEP_1)
	v_add_nc_u32_e32 v11, v10, v12
	v_add_nc_u32_e32 v12, v11, v13
	s_delay_alu instid0(VALU_DEP_1) | instskip(NEXT) | instid1(VALU_DEP_1)
	v_add_nc_u32_e32 v13, v12, v14
	v_add_nc_u32_e32 v14, v13, v15
	s_delay_alu instid0(VALU_DEP_1) | instskip(NEXT) | instid1(VALU_DEP_1)
	v_add_nc_u32_e32 v15, v14, v16
	v_add_nc_u32_e32 v7, v15, v7
	ds_store_2addr_b32 v34, v8, v0 offset1:1
	ds_store_2addr_b32 v34, v9, v5 offset0:2 offset1:3
	ds_store_2addr_b32 v34, v6, v3 offset0:4 offset1:5
	;; [unrolled: 1-line block ×7, first 2 shown]
	s_waitcnt lgkmcnt(0)
	s_barrier
	buffer_gl0_inv
	ds_load_b32 v16, v18 offset:256
	ds_load_b32 v15, v21 offset:512
	;; [unrolled: 1-line block ×15, first 2 shown]
	v_add_co_u32 v0, s0, s0, v19
	s_delay_alu instid0(VALU_DEP_1)
	v_add_co_ci_u32_e64 v1, null, s1, 0, s0
	s_and_saveexec_b32 s0, vcc_lo
	s_cbranch_execnz .LBB6_53
; %bb.37:
	s_or_b32 exec_lo, exec_lo, s0
	s_and_saveexec_b32 s0, s2
	s_cbranch_execnz .LBB6_54
.LBB6_38:
	s_or_b32 exec_lo, exec_lo, s0
	s_and_saveexec_b32 s0, s3
	s_cbranch_execnz .LBB6_55
.LBB6_39:
	s_or_b32 exec_lo, exec_lo, s0
	s_and_saveexec_b32 s0, s4
	s_cbranch_execnz .LBB6_56
.LBB6_40:
	s_or_b32 exec_lo, exec_lo, s0
	s_and_saveexec_b32 s0, s5
	s_cbranch_execnz .LBB6_57
.LBB6_41:
	s_or_b32 exec_lo, exec_lo, s0
	s_and_saveexec_b32 s0, s6
	s_cbranch_execnz .LBB6_58
.LBB6_42:
	s_or_b32 exec_lo, exec_lo, s0
	s_and_saveexec_b32 s0, s7
	s_cbranch_execnz .LBB6_59
.LBB6_43:
	s_or_b32 exec_lo, exec_lo, s0
	s_and_saveexec_b32 s0, s8
	s_cbranch_execnz .LBB6_60
.LBB6_44:
	s_or_b32 exec_lo, exec_lo, s0
	s_and_saveexec_b32 s0, s9
	s_cbranch_execnz .LBB6_61
.LBB6_45:
	s_or_b32 exec_lo, exec_lo, s0
	s_and_saveexec_b32 s0, s10
	s_cbranch_execnz .LBB6_62
.LBB6_46:
	s_or_b32 exec_lo, exec_lo, s0
	s_and_saveexec_b32 s0, s11
	s_cbranch_execnz .LBB6_63
.LBB6_47:
	s_or_b32 exec_lo, exec_lo, s0
	s_and_saveexec_b32 s0, s12
	s_cbranch_execnz .LBB6_64
.LBB6_48:
	s_or_b32 exec_lo, exec_lo, s0
	s_and_saveexec_b32 s0, s13
	s_cbranch_execnz .LBB6_65
.LBB6_49:
	s_or_b32 exec_lo, exec_lo, s0
	s_and_saveexec_b32 s0, s14
	s_cbranch_execnz .LBB6_66
.LBB6_50:
	s_or_b32 exec_lo, exec_lo, s0
	s_and_saveexec_b32 s0, s15
	s_cbranch_execnz .LBB6_67
.LBB6_51:
	s_or_b32 exec_lo, exec_lo, s0
	s_and_saveexec_b32 s0, s16
	s_cbranch_execnz .LBB6_68
.LBB6_52:
	s_nop 0
	s_sendmsg sendmsg(MSG_DEALLOC_VGPRS)
	s_endpgm
.LBB6_53:
	ds_load_b32 v17, v17
	s_waitcnt lgkmcnt(0)
	global_store_b32 v[0:1], v17, off
	s_or_b32 exec_lo, exec_lo, s0
	s_and_saveexec_b32 s0, s2
	s_cbranch_execz .LBB6_38
.LBB6_54:
	s_waitcnt lgkmcnt(14)
	global_store_b32 v[0:1], v16, off offset:256
	s_or_b32 exec_lo, exec_lo, s0
	s_and_saveexec_b32 s0, s3
	s_cbranch_execz .LBB6_39
.LBB6_55:
	s_waitcnt lgkmcnt(13)
	global_store_b32 v[0:1], v15, off offset:512
	s_or_b32 exec_lo, exec_lo, s0
	s_and_saveexec_b32 s0, s4
	s_cbranch_execz .LBB6_40
.LBB6_56:
	s_waitcnt lgkmcnt(12)
	global_store_b32 v[0:1], v14, off offset:768
	s_or_b32 exec_lo, exec_lo, s0
	s_and_saveexec_b32 s0, s5
	s_cbranch_execz .LBB6_41
.LBB6_57:
	s_waitcnt lgkmcnt(11)
	global_store_b32 v[0:1], v13, off offset:1024
	s_or_b32 exec_lo, exec_lo, s0
	s_and_saveexec_b32 s0, s6
	s_cbranch_execz .LBB6_42
.LBB6_58:
	s_waitcnt lgkmcnt(10)
	global_store_b32 v[0:1], v12, off offset:1280
	s_or_b32 exec_lo, exec_lo, s0
	s_and_saveexec_b32 s0, s7
	s_cbranch_execz .LBB6_43
.LBB6_59:
	s_waitcnt lgkmcnt(9)
	global_store_b32 v[0:1], v11, off offset:1536
	s_or_b32 exec_lo, exec_lo, s0
	s_and_saveexec_b32 s0, s8
	s_cbranch_execz .LBB6_44
.LBB6_60:
	s_waitcnt lgkmcnt(8)
	global_store_b32 v[0:1], v10, off offset:1792
	s_or_b32 exec_lo, exec_lo, s0
	s_and_saveexec_b32 s0, s9
	s_cbranch_execz .LBB6_45
.LBB6_61:
	s_waitcnt lgkmcnt(7)
	global_store_b32 v[0:1], v9, off offset:2048
	s_or_b32 exec_lo, exec_lo, s0
	s_and_saveexec_b32 s0, s10
	s_cbranch_execz .LBB6_46
.LBB6_62:
	s_waitcnt lgkmcnt(6)
	global_store_b32 v[0:1], v8, off offset:2304
	s_or_b32 exec_lo, exec_lo, s0
	s_and_saveexec_b32 s0, s11
	s_cbranch_execz .LBB6_47
.LBB6_63:
	s_waitcnt lgkmcnt(5)
	global_store_b32 v[0:1], v7, off offset:2560
	s_or_b32 exec_lo, exec_lo, s0
	s_and_saveexec_b32 s0, s12
	s_cbranch_execz .LBB6_48
.LBB6_64:
	s_waitcnt lgkmcnt(4)
	global_store_b32 v[0:1], v6, off offset:2816
	s_or_b32 exec_lo, exec_lo, s0
	s_and_saveexec_b32 s0, s13
	s_cbranch_execz .LBB6_49
.LBB6_65:
	s_waitcnt lgkmcnt(3)
	global_store_b32 v[0:1], v5, off offset:3072
	s_or_b32 exec_lo, exec_lo, s0
	s_and_saveexec_b32 s0, s14
	s_cbranch_execz .LBB6_50
.LBB6_66:
	s_waitcnt lgkmcnt(2)
	global_store_b32 v[0:1], v4, off offset:3328
	s_or_b32 exec_lo, exec_lo, s0
	s_and_saveexec_b32 s0, s15
	s_cbranch_execz .LBB6_51
.LBB6_67:
	s_waitcnt lgkmcnt(1)
	global_store_b32 v[0:1], v3, off offset:3584
	s_or_b32 exec_lo, exec_lo, s0
	s_and_saveexec_b32 s0, s16
	s_cbranch_execz .LBB6_52
.LBB6_68:
	s_waitcnt lgkmcnt(0)
	global_store_b32 v[0:1], v2, off offset:3840
	s_nop 0
	s_sendmsg sendmsg(MSG_DEALLOC_VGPRS)
	s_endpgm
	.section	.rodata,"a",@progbits
	.p2align	6, 0x0
	.amdhsa_kernel _ZN7rocprim6detail18single_scan_kernelILb1ENS0_19wrapped_scan_configINS_14default_configEjEEPjS5_N6thrust4plusIvEEjjEEvT1_mT4_T2_T3_
		.amdhsa_group_segment_fixed_size 4224
		.amdhsa_private_segment_fixed_size 0
		.amdhsa_kernarg_size 36
		.amdhsa_user_sgpr_count 15
		.amdhsa_user_sgpr_dispatch_ptr 0
		.amdhsa_user_sgpr_queue_ptr 0
		.amdhsa_user_sgpr_kernarg_segment_ptr 1
		.amdhsa_user_sgpr_dispatch_id 0
		.amdhsa_user_sgpr_private_segment_size 0
		.amdhsa_wavefront_size32 1
		.amdhsa_uses_dynamic_stack 0
		.amdhsa_enable_private_segment 0
		.amdhsa_system_sgpr_workgroup_id_x 1
		.amdhsa_system_sgpr_workgroup_id_y 0
		.amdhsa_system_sgpr_workgroup_id_z 0
		.amdhsa_system_sgpr_workgroup_info 0
		.amdhsa_system_vgpr_workitem_id 0
		.amdhsa_next_free_vgpr 43
		.amdhsa_next_free_sgpr 24
		.amdhsa_reserve_vcc 1
		.amdhsa_float_round_mode_32 0
		.amdhsa_float_round_mode_16_64 0
		.amdhsa_float_denorm_mode_32 3
		.amdhsa_float_denorm_mode_16_64 3
		.amdhsa_dx10_clamp 1
		.amdhsa_ieee_mode 1
		.amdhsa_fp16_overflow 0
		.amdhsa_workgroup_processor_mode 1
		.amdhsa_memory_ordered 1
		.amdhsa_forward_progress 0
		.amdhsa_shared_vgpr_count 0
		.amdhsa_exception_fp_ieee_invalid_op 0
		.amdhsa_exception_fp_denorm_src 0
		.amdhsa_exception_fp_ieee_div_zero 0
		.amdhsa_exception_fp_ieee_overflow 0
		.amdhsa_exception_fp_ieee_underflow 0
		.amdhsa_exception_fp_ieee_inexact 0
		.amdhsa_exception_int_div_zero 0
	.end_amdhsa_kernel
	.section	.text._ZN7rocprim6detail18single_scan_kernelILb1ENS0_19wrapped_scan_configINS_14default_configEjEEPjS5_N6thrust4plusIvEEjjEEvT1_mT4_T2_T3_,"axG",@progbits,_ZN7rocprim6detail18single_scan_kernelILb1ENS0_19wrapped_scan_configINS_14default_configEjEEPjS5_N6thrust4plusIvEEjjEEvT1_mT4_T2_T3_,comdat
.Lfunc_end6:
	.size	_ZN7rocprim6detail18single_scan_kernelILb1ENS0_19wrapped_scan_configINS_14default_configEjEEPjS5_N6thrust4plusIvEEjjEEvT1_mT4_T2_T3_, .Lfunc_end6-_ZN7rocprim6detail18single_scan_kernelILb1ENS0_19wrapped_scan_configINS_14default_configEjEEPjS5_N6thrust4plusIvEEjjEEvT1_mT4_T2_T3_
                                        ; -- End function
	.section	.AMDGPU.csdata,"",@progbits
; Kernel info:
; codeLenInByte = 2748
; NumSgprs: 26
; NumVgprs: 43
; ScratchSize: 0
; MemoryBound: 0
; FloatMode: 240
; IeeeMode: 1
; LDSByteSize: 4224 bytes/workgroup (compile time only)
; SGPRBlocks: 3
; VGPRBlocks: 5
; NumSGPRsForWavesPerEU: 26
; NumVGPRsForWavesPerEU: 43
; Occupancy: 16
; WaveLimiterHint : 0
; COMPUTE_PGM_RSRC2:SCRATCH_EN: 0
; COMPUTE_PGM_RSRC2:USER_SGPR: 15
; COMPUTE_PGM_RSRC2:TRAP_HANDLER: 0
; COMPUTE_PGM_RSRC2:TGID_X_EN: 1
; COMPUTE_PGM_RSRC2:TGID_Y_EN: 0
; COMPUTE_PGM_RSRC2:TGID_Z_EN: 0
; COMPUTE_PGM_RSRC2:TIDIG_COMP_CNT: 0
	.section	.text._Z15fillBlockColEllILi2EEviiPjPKiS2_S2_S2_PKdS0_Pd,"axG",@progbits,_Z15fillBlockColEllILi2EEviiPjPKiS2_S2_S2_PKdS0_Pd,comdat
	.protected	_Z15fillBlockColEllILi2EEviiPjPKiS2_S2_S2_PKdS0_Pd ; -- Begin function _Z15fillBlockColEllILi2EEviiPjPKiS2_S2_S2_PKdS0_Pd
	.globl	_Z15fillBlockColEllILi2EEviiPjPKiS2_S2_S2_PKdS0_Pd
	.p2align	8
	.type	_Z15fillBlockColEllILi2EEviiPjPKiS2_S2_S2_PKdS0_Pd,@function
_Z15fillBlockColEllILi2EEviiPjPKiS2_S2_S2_PKdS0_Pd: ; @_Z15fillBlockColEllILi2EEviiPjPKiS2_S2_S2_PKdS0_Pd
; %bb.0:
	s_clause 0x1
	s_load_b32 s4, s[0:1], 0x54
	s_load_b64 s[2:3], s[0:1], 0x0
	v_lshrrev_b32_e32 v3, 1, v0
	v_mov_b32_e32 v8, 0
	s_waitcnt lgkmcnt(0)
	s_bfe_u32 s4, s4, 0xf0001
	s_add_i32 s3, s3, -1
	v_mad_u64_u32 v[1:2], null, s15, s4, v[3:4]
	v_mov_b32_e32 v2, s3
	s_delay_alu instid0(VALU_DEP_2)
	v_cmp_gt_i32_e32 vcc_lo, s2, v1
	s_and_saveexec_b32 s3, vcc_lo
	s_cbranch_execz .LBB7_2
; %bb.1:
	s_load_b128 s[4:7], s[0:1], 0x10
	v_ashrrev_i32_e32 v2, 31, v1
	s_delay_alu instid0(VALU_DEP_1) | instskip(SKIP_1) | instid1(VALU_DEP_1)
	v_lshlrev_b64 v[2:3], 2, v[1:2]
	s_waitcnt lgkmcnt(0)
	v_add_co_u32 v4, s2, s4, v2
	s_delay_alu instid0(VALU_DEP_1) | instskip(SKIP_1) | instid1(VALU_DEP_1)
	v_add_co_ci_u32_e64 v5, s2, s5, v3, s2
	v_add_co_u32 v6, s2, s6, v2
	v_add_co_ci_u32_e64 v7, s2, s7, v3, s2
	global_load_b32 v2, v[4:5], off
	global_load_b32 v8, v[6:7], off
.LBB7_2:
	s_or_b32 exec_lo, exec_lo, s3
	s_and_saveexec_b32 s2, vcc_lo
	s_cbranch_execz .LBB7_9
; %bb.3:
	v_and_b32_e32 v9, 1, v0
	s_load_b64 s[2:3], s[0:1], 0x20
	s_waitcnt vmcnt(1)
	v_ashrrev_i32_e32 v3, 31, v2
	s_load_b128 s[4:7], s[0:1], 0x38
	v_add_nc_u32_e32 v0, v1, v9
	s_delay_alu instid0(VALU_DEP_1) | instskip(NEXT) | instid1(VALU_DEP_1)
	v_ashrrev_i32_e32 v1, 31, v0
	v_lshlrev_b64 v[0:1], 2, v[0:1]
	s_waitcnt lgkmcnt(0)
	s_delay_alu instid0(VALU_DEP_1) | instskip(NEXT) | instid1(VALU_DEP_2)
	v_add_co_u32 v0, vcc_lo, s2, v0
	v_add_co_ci_u32_e32 v1, vcc_lo, s3, v1, vcc_lo
	s_load_b64 s[2:3], s[0:1], 0x8
	global_load_b32 v4, v[0:1], off
	v_lshlrev_b64 v[0:1], 2, v[2:3]
	v_mbcnt_lo_u32_b32 v2, -1, 0
	s_delay_alu instid0(VALU_DEP_1) | instskip(NEXT) | instid1(VALU_DEP_1)
	v_lshlrev_b32_e32 v2, 2, v2
	v_and_b32_e32 v3, 0x78, v2
	v_or_b32_e32 v2, 4, v2
	s_waitcnt lgkmcnt(0)
	v_add_co_u32 v0, vcc_lo, s2, v0
	v_add_co_ci_u32_e32 v1, vcc_lo, s3, v1, vcc_lo
	v_cmp_eq_u32_e32 vcc_lo, 0, v9
	s_mov_b32 s3, 0
	s_mov_b32 s2, exec_lo
	global_load_b64 v[0:1], v[0:1], off
	s_waitcnt vmcnt(1)
	v_cndmask_b32_e32 v5, s0, v4, vcc_lo
	v_cmp_eq_u32_e32 vcc_lo, 1, v9
	ds_bpermute_b32 v10, v3, v5
	v_cndmask_b32_e32 v4, s0, v4, vcc_lo
	ds_bpermute_b32 v11, v2, v4
	s_waitcnt lgkmcnt(1)
	v_add_nc_u32_e32 v12, v10, v9
	s_waitcnt lgkmcnt(0)
	s_delay_alu instid0(VALU_DEP_1)
	v_cmpx_lt_i32_e64 v12, v11
	s_cbranch_execz .LBB7_6
; %bb.4:
	s_load_b128 s[8:11], s[0:1], 0x28
	v_ashrrev_i32_e32 v3, 31, v10
	v_add_co_u32 v2, vcc_lo, v10, v9
	s_waitcnt vmcnt(0)
	v_add_nc_u32_e32 v13, v0, v9
	s_delay_alu instid0(VALU_DEP_3) | instskip(NEXT) | instid1(VALU_DEP_1)
	v_add_co_ci_u32_e32 v3, vcc_lo, 0, v3, vcc_lo
	v_lshlrev_b64 v[4:5], 2, v[2:3]
	v_lshlrev_b64 v[6:7], 3, v[2:3]
	s_waitcnt lgkmcnt(0)
	s_delay_alu instid0(VALU_DEP_2) | instskip(NEXT) | instid1(VALU_DEP_3)
	v_add_co_u32 v2, vcc_lo, s8, v4
	v_add_co_ci_u32_e32 v3, vcc_lo, s9, v5, vcc_lo
	s_delay_alu instid0(VALU_DEP_3) | instskip(NEXT) | instid1(VALU_DEP_4)
	v_add_co_u32 v4, vcc_lo, s10, v6
	v_add_co_ci_u32_e32 v5, vcc_lo, s11, v7, vcc_lo
	v_lshl_add_u32 v6, v13, 5, v8
	s_set_inst_prefetch_distance 0x1
	.p2align	6
.LBB7_5:                                ; =>This Inner Loop Header: Depth=1
	global_load_b32 v19, v[2:3], off
	global_load_b64 v[13:14], v[4:5], off
	v_ashrrev_i32_e32 v7, 31, v6
	v_add_co_u32 v2, vcc_lo, v2, 8
	v_add_nc_u32_e32 v12, 2, v12
	v_add_co_ci_u32_e32 v3, vcc_lo, 0, v3, vcc_lo
	s_delay_alu instid0(VALU_DEP_4) | instskip(SKIP_3) | instid1(VALU_DEP_4)
	v_lshlrev_b64 v[15:16], 2, v[6:7]
	v_lshlrev_b64 v[17:18], 3, v[6:7]
	v_add_co_u32 v4, vcc_lo, v4, 16
	v_add_co_ci_u32_e32 v5, vcc_lo, 0, v5, vcc_lo
	v_add_co_u32 v15, s0, s4, v15
	v_cmp_ge_i32_e32 vcc_lo, v12, v11
	v_add_co_ci_u32_e64 v16, s0, s5, v16, s0
	v_add_co_u32 v17, s0, s6, v17
	v_add_nc_u32_e32 v6, 64, v6
	v_add_co_ci_u32_e64 v18, s0, s7, v18, s0
	s_or_b32 s3, vcc_lo, s3
	s_waitcnt vmcnt(1)
	global_store_b32 v[15:16], v19, off
	s_waitcnt vmcnt(0)
	global_store_b64 v[17:18], v[13:14], off
	s_and_not1_b32 exec_lo, exec_lo, s3
	s_cbranch_execnz .LBB7_5
.LBB7_6:
	s_set_inst_prefetch_distance 0x2
	s_or_b32 exec_lo, exec_lo, s2
	v_sub_nc_u32_e32 v2, v9, v10
	s_waitcnt vmcnt(0)
	v_sub_nc_u32_e32 v4, v1, v0
	s_delay_alu instid0(VALU_DEP_2) | instskip(NEXT) | instid1(VALU_DEP_1)
	v_add_nc_u32_e32 v5, v2, v11
	v_cmp_lt_u32_e32 vcc_lo, v5, v4
	s_and_b32 exec_lo, exec_lo, vcc_lo
	s_cbranch_execz .LBB7_9
; %bb.7:
	v_add3_u32 v0, v11, v0, v9
	s_mov_b32 s1, 0
	s_delay_alu instid0(VALU_DEP_1) | instskip(SKIP_1) | instid1(VALU_DEP_2)
	v_sub_nc_u32_e32 v1, v0, v10
	v_mov_b32_e32 v0, 0
	v_lshl_add_u32 v2, v1, 5, v8
	s_delay_alu instid0(VALU_DEP_2)
	v_mov_b32_e32 v1, v0
	.p2align	6
.LBB7_8:                                ; =>This Inner Loop Header: Depth=1
	s_delay_alu instid0(VALU_DEP_2) | instskip(SKIP_1) | instid1(VALU_DEP_2)
	v_ashrrev_i32_e32 v3, 31, v2
	v_add_nc_u32_e32 v5, 2, v5
	v_lshlrev_b64 v[6:7], 2, v[2:3]
	v_lshlrev_b64 v[8:9], 3, v[2:3]
	s_delay_alu instid0(VALU_DEP_3) | instskip(SKIP_1) | instid1(VALU_DEP_4)
	v_cmp_ge_u32_e32 vcc_lo, v5, v4
	v_add_nc_u32_e32 v2, 64, v2
	v_add_co_u32 v6, s0, s4, v6
	s_delay_alu instid0(VALU_DEP_1) | instskip(SKIP_1) | instid1(VALU_DEP_1)
	v_add_co_ci_u32_e64 v7, s0, s5, v7, s0
	v_add_co_u32 v8, s0, s6, v8
	v_add_co_ci_u32_e64 v9, s0, s7, v9, s0
	s_or_b32 s1, vcc_lo, s1
	global_store_b32 v[6:7], v0, off
	global_store_b64 v[8:9], v[0:1], off
	s_and_not1_b32 exec_lo, exec_lo, s1
	s_cbranch_execnz .LBB7_8
.LBB7_9:
	s_nop 0
	s_sendmsg sendmsg(MSG_DEALLOC_VGPRS)
	s_endpgm
	.section	.rodata,"a",@progbits
	.p2align	6, 0x0
	.amdhsa_kernel _Z15fillBlockColEllILi2EEviiPjPKiS2_S2_S2_PKdS0_Pd
		.amdhsa_group_segment_fixed_size 0
		.amdhsa_private_segment_fixed_size 0
		.amdhsa_kernarg_size 328
		.amdhsa_user_sgpr_count 15
		.amdhsa_user_sgpr_dispatch_ptr 0
		.amdhsa_user_sgpr_queue_ptr 0
		.amdhsa_user_sgpr_kernarg_segment_ptr 1
		.amdhsa_user_sgpr_dispatch_id 0
		.amdhsa_user_sgpr_private_segment_size 0
		.amdhsa_wavefront_size32 1
		.amdhsa_uses_dynamic_stack 0
		.amdhsa_enable_private_segment 0
		.amdhsa_system_sgpr_workgroup_id_x 1
		.amdhsa_system_sgpr_workgroup_id_y 0
		.amdhsa_system_sgpr_workgroup_id_z 0
		.amdhsa_system_sgpr_workgroup_info 0
		.amdhsa_system_vgpr_workitem_id 0
		.amdhsa_next_free_vgpr 20
		.amdhsa_next_free_sgpr 16
		.amdhsa_reserve_vcc 1
		.amdhsa_float_round_mode_32 0
		.amdhsa_float_round_mode_16_64 0
		.amdhsa_float_denorm_mode_32 3
		.amdhsa_float_denorm_mode_16_64 3
		.amdhsa_dx10_clamp 1
		.amdhsa_ieee_mode 1
		.amdhsa_fp16_overflow 0
		.amdhsa_workgroup_processor_mode 1
		.amdhsa_memory_ordered 1
		.amdhsa_forward_progress 0
		.amdhsa_shared_vgpr_count 0
		.amdhsa_exception_fp_ieee_invalid_op 0
		.amdhsa_exception_fp_denorm_src 0
		.amdhsa_exception_fp_ieee_div_zero 0
		.amdhsa_exception_fp_ieee_overflow 0
		.amdhsa_exception_fp_ieee_underflow 0
		.amdhsa_exception_fp_ieee_inexact 0
		.amdhsa_exception_int_div_zero 0
	.end_amdhsa_kernel
	.section	.text._Z15fillBlockColEllILi2EEviiPjPKiS2_S2_S2_PKdS0_Pd,"axG",@progbits,_Z15fillBlockColEllILi2EEviiPjPKiS2_S2_S2_PKdS0_Pd,comdat
.Lfunc_end7:
	.size	_Z15fillBlockColEllILi2EEviiPjPKiS2_S2_S2_PKdS0_Pd, .Lfunc_end7-_Z15fillBlockColEllILi2EEviiPjPKiS2_S2_S2_PKdS0_Pd
                                        ; -- End function
	.section	.AMDGPU.csdata,"",@progbits
; Kernel info:
; codeLenInByte = 820
; NumSgprs: 18
; NumVgprs: 20
; ScratchSize: 0
; MemoryBound: 0
; FloatMode: 240
; IeeeMode: 1
; LDSByteSize: 0 bytes/workgroup (compile time only)
; SGPRBlocks: 2
; VGPRBlocks: 2
; NumSGPRsForWavesPerEU: 18
; NumVGPRsForWavesPerEU: 20
; Occupancy: 16
; WaveLimiterHint : 0
; COMPUTE_PGM_RSRC2:SCRATCH_EN: 0
; COMPUTE_PGM_RSRC2:USER_SGPR: 15
; COMPUTE_PGM_RSRC2:TRAP_HANDLER: 0
; COMPUTE_PGM_RSRC2:TGID_X_EN: 1
; COMPUTE_PGM_RSRC2:TGID_Y_EN: 0
; COMPUTE_PGM_RSRC2:TGID_Z_EN: 0
; COMPUTE_PGM_RSRC2:TIDIG_COMP_CNT: 0
	.section	.text._Z15fillBlockColEllILi4EEviiPjPKiS2_S2_S2_PKdS0_Pd,"axG",@progbits,_Z15fillBlockColEllILi4EEviiPjPKiS2_S2_S2_PKdS0_Pd,comdat
	.protected	_Z15fillBlockColEllILi4EEviiPjPKiS2_S2_S2_PKdS0_Pd ; -- Begin function _Z15fillBlockColEllILi4EEviiPjPKiS2_S2_S2_PKdS0_Pd
	.globl	_Z15fillBlockColEllILi4EEviiPjPKiS2_S2_S2_PKdS0_Pd
	.p2align	8
	.type	_Z15fillBlockColEllILi4EEviiPjPKiS2_S2_S2_PKdS0_Pd,@function
_Z15fillBlockColEllILi4EEviiPjPKiS2_S2_S2_PKdS0_Pd: ; @_Z15fillBlockColEllILi4EEviiPjPKiS2_S2_S2_PKdS0_Pd
; %bb.0:
	s_clause 0x1
	s_load_b32 s4, s[0:1], 0x54
	s_load_b64 s[2:3], s[0:1], 0x0
	v_lshrrev_b32_e32 v1, 2, v0
	v_mov_b32_e32 v9, 0
	s_waitcnt lgkmcnt(0)
	s_bfe_u32 s4, s4, 0xe0002
	s_add_i32 s3, s3, -1
	v_mad_u64_u32 v[3:4], null, s15, s4, v[1:2]
	v_mov_b32_e32 v1, s3
	s_delay_alu instid0(VALU_DEP_2)
	v_cmp_gt_i32_e32 vcc_lo, s2, v3
	s_and_saveexec_b32 s3, vcc_lo
	s_cbranch_execz .LBB8_2
; %bb.1:
	s_load_b128 s[4:7], s[0:1], 0x10
	v_ashrrev_i32_e32 v4, 31, v3
	s_delay_alu instid0(VALU_DEP_1) | instskip(SKIP_1) | instid1(VALU_DEP_1)
	v_lshlrev_b64 v[1:2], 2, v[3:4]
	s_waitcnt lgkmcnt(0)
	v_add_co_u32 v4, s2, s4, v1
	s_delay_alu instid0(VALU_DEP_1) | instskip(SKIP_1) | instid1(VALU_DEP_1)
	v_add_co_ci_u32_e64 v5, s2, s5, v2, s2
	v_add_co_u32 v6, s2, s6, v1
	v_add_co_ci_u32_e64 v7, s2, s7, v2, s2
	global_load_b32 v1, v[4:5], off
	global_load_b32 v9, v[6:7], off
.LBB8_2:
	s_or_b32 exec_lo, exec_lo, s3
	s_and_saveexec_b32 s2, vcc_lo
	s_cbranch_execz .LBB8_11
; %bb.3:
	s_clause 0x1
	s_load_b64 s[2:3], s[0:1], 0x8
	s_load_b128 s[4:7], s[0:1], 0x38
	s_waitcnt vmcnt(1)
	v_ashrrev_i32_e32 v2, 31, v1
	v_and_b32_e32 v0, 3, v0
                                        ; implicit-def: $vgpr4
	s_delay_alu instid0(VALU_DEP_2) | instskip(SKIP_1) | instid1(VALU_DEP_1)
	v_lshlrev_b64 v[1:2], 2, v[1:2]
	s_waitcnt lgkmcnt(0)
	v_add_co_u32 v1, vcc_lo, s2, v1
	s_delay_alu instid0(VALU_DEP_2)
	v_add_co_ci_u32_e32 v2, vcc_lo, s3, v2, vcc_lo
	s_mov_b32 s2, exec_lo
	global_load_b64 v[1:2], v[1:2], off
	v_cmpx_gt_u32_e32 2, v0
	s_cbranch_execz .LBB8_5
; %bb.4:
	s_load_b64 s[8:9], s[0:1], 0x20
	v_add_nc_u32_e32 v3, v3, v0
	s_delay_alu instid0(VALU_DEP_1) | instskip(NEXT) | instid1(VALU_DEP_1)
	v_ashrrev_i32_e32 v4, 31, v3
	v_lshlrev_b64 v[3:4], 2, v[3:4]
	s_waitcnt lgkmcnt(0)
	s_delay_alu instid0(VALU_DEP_1) | instskip(NEXT) | instid1(VALU_DEP_2)
	v_add_co_u32 v3, vcc_lo, s8, v3
	v_add_co_ci_u32_e32 v4, vcc_lo, s9, v4, vcc_lo
	global_load_b32 v4, v[3:4], off
.LBB8_5:
	s_or_b32 exec_lo, exec_lo, s2
	v_mbcnt_lo_u32_b32 v3, -1, 0
	s_mov_b32 s3, 0
	s_mov_b32 s2, exec_lo
	s_delay_alu instid0(VALU_DEP_1) | instskip(NEXT) | instid1(VALU_DEP_1)
	v_lshlrev_b32_e32 v3, 2, v3
	v_and_b32_e32 v3, 0x70, v3
	s_waitcnt vmcnt(0)
	ds_bpermute_b32 v10, v3, v4
	ds_bpermute_b32 v11, v3, v4 offset:4
	s_waitcnt lgkmcnt(1)
	v_add_nc_u32_e32 v12, v10, v0
	s_waitcnt lgkmcnt(0)
	s_delay_alu instid0(VALU_DEP_1)
	v_cmpx_lt_i32_e64 v12, v11
	s_cbranch_execz .LBB8_8
; %bb.6:
	s_load_b128 s[8:11], s[0:1], 0x28
	v_ashrrev_i32_e32 v4, 31, v10
	v_add_co_u32 v3, vcc_lo, v10, v0
	v_add_nc_u32_e32 v13, v1, v0
	s_delay_alu instid0(VALU_DEP_3) | instskip(NEXT) | instid1(VALU_DEP_1)
	v_add_co_ci_u32_e32 v4, vcc_lo, 0, v4, vcc_lo
	v_lshlrev_b64 v[5:6], 2, v[3:4]
	v_lshlrev_b64 v[7:8], 3, v[3:4]
	s_waitcnt lgkmcnt(0)
	s_delay_alu instid0(VALU_DEP_2) | instskip(NEXT) | instid1(VALU_DEP_3)
	v_add_co_u32 v3, vcc_lo, s8, v5
	v_add_co_ci_u32_e32 v4, vcc_lo, s9, v6, vcc_lo
	s_delay_alu instid0(VALU_DEP_3) | instskip(NEXT) | instid1(VALU_DEP_4)
	v_add_co_u32 v5, vcc_lo, s10, v7
	v_add_co_ci_u32_e32 v6, vcc_lo, s11, v8, vcc_lo
	v_lshl_add_u32 v7, v13, 5, v9
	s_set_inst_prefetch_distance 0x1
	.p2align	6
.LBB8_7:                                ; =>This Inner Loop Header: Depth=1
	global_load_b32 v19, v[3:4], off
	global_load_b64 v[13:14], v[5:6], off
	v_ashrrev_i32_e32 v8, 31, v7
	v_add_co_u32 v3, vcc_lo, v3, 16
	v_add_nc_u32_e32 v12, 4, v12
	v_add_co_ci_u32_e32 v4, vcc_lo, 0, v4, vcc_lo
	s_delay_alu instid0(VALU_DEP_4) | instskip(SKIP_3) | instid1(VALU_DEP_4)
	v_lshlrev_b64 v[15:16], 2, v[7:8]
	v_lshlrev_b64 v[17:18], 3, v[7:8]
	v_add_co_u32 v5, vcc_lo, v5, 32
	v_add_co_ci_u32_e32 v6, vcc_lo, 0, v6, vcc_lo
	v_add_co_u32 v15, s0, s4, v15
	v_cmp_ge_i32_e32 vcc_lo, v12, v11
	v_add_co_ci_u32_e64 v16, s0, s5, v16, s0
	v_add_co_u32 v17, s0, s6, v17
	v_add_nc_u32_e32 v7, 0x80, v7
	v_add_co_ci_u32_e64 v18, s0, s7, v18, s0
	s_or_b32 s3, vcc_lo, s3
	s_waitcnt vmcnt(1)
	global_store_b32 v[15:16], v19, off
	s_waitcnt vmcnt(0)
	global_store_b64 v[17:18], v[13:14], off
	s_and_not1_b32 exec_lo, exec_lo, s3
	s_cbranch_execnz .LBB8_7
.LBB8_8:
	s_set_inst_prefetch_distance 0x2
	s_or_b32 exec_lo, exec_lo, s2
	v_sub_nc_u32_e32 v3, v0, v10
	v_sub_nc_u32_e32 v4, v2, v1
	s_delay_alu instid0(VALU_DEP_2) | instskip(NEXT) | instid1(VALU_DEP_1)
	v_add_nc_u32_e32 v5, v3, v11
	v_cmp_lt_u32_e32 vcc_lo, v5, v4
	s_and_b32 exec_lo, exec_lo, vcc_lo
	s_cbranch_execz .LBB8_11
; %bb.9:
	v_add3_u32 v0, v11, v1, v0
	s_mov_b32 s1, 0
	s_delay_alu instid0(VALU_DEP_1) | instskip(SKIP_1) | instid1(VALU_DEP_2)
	v_sub_nc_u32_e32 v1, v0, v10
	v_mov_b32_e32 v0, 0
	v_lshl_add_u32 v2, v1, 5, v9
	s_delay_alu instid0(VALU_DEP_2)
	v_mov_b32_e32 v1, v0
	.p2align	6
.LBB8_10:                               ; =>This Inner Loop Header: Depth=1
	s_delay_alu instid0(VALU_DEP_2) | instskip(SKIP_1) | instid1(VALU_DEP_2)
	v_ashrrev_i32_e32 v3, 31, v2
	v_add_nc_u32_e32 v5, 4, v5
	v_lshlrev_b64 v[6:7], 2, v[2:3]
	v_lshlrev_b64 v[8:9], 3, v[2:3]
	s_delay_alu instid0(VALU_DEP_3) | instskip(SKIP_1) | instid1(VALU_DEP_4)
	v_cmp_ge_u32_e32 vcc_lo, v5, v4
	v_add_nc_u32_e32 v2, 0x80, v2
	v_add_co_u32 v6, s0, s4, v6
	s_delay_alu instid0(VALU_DEP_1) | instskip(SKIP_1) | instid1(VALU_DEP_1)
	v_add_co_ci_u32_e64 v7, s0, s5, v7, s0
	v_add_co_u32 v8, s0, s6, v8
	v_add_co_ci_u32_e64 v9, s0, s7, v9, s0
	s_or_b32 s1, vcc_lo, s1
	global_store_b32 v[6:7], v0, off
	global_store_b64 v[8:9], v[0:1], off
	s_and_not1_b32 exec_lo, exec_lo, s1
	s_cbranch_execnz .LBB8_10
.LBB8_11:
	s_nop 0
	s_sendmsg sendmsg(MSG_DEALLOC_VGPRS)
	s_endpgm
	.section	.rodata,"a",@progbits
	.p2align	6, 0x0
	.amdhsa_kernel _Z15fillBlockColEllILi4EEviiPjPKiS2_S2_S2_PKdS0_Pd
		.amdhsa_group_segment_fixed_size 0
		.amdhsa_private_segment_fixed_size 0
		.amdhsa_kernarg_size 328
		.amdhsa_user_sgpr_count 15
		.amdhsa_user_sgpr_dispatch_ptr 0
		.amdhsa_user_sgpr_queue_ptr 0
		.amdhsa_user_sgpr_kernarg_segment_ptr 1
		.amdhsa_user_sgpr_dispatch_id 0
		.amdhsa_user_sgpr_private_segment_size 0
		.amdhsa_wavefront_size32 1
		.amdhsa_uses_dynamic_stack 0
		.amdhsa_enable_private_segment 0
		.amdhsa_system_sgpr_workgroup_id_x 1
		.amdhsa_system_sgpr_workgroup_id_y 0
		.amdhsa_system_sgpr_workgroup_id_z 0
		.amdhsa_system_sgpr_workgroup_info 0
		.amdhsa_system_vgpr_workitem_id 0
		.amdhsa_next_free_vgpr 20
		.amdhsa_next_free_sgpr 16
		.amdhsa_reserve_vcc 1
		.amdhsa_float_round_mode_32 0
		.amdhsa_float_round_mode_16_64 0
		.amdhsa_float_denorm_mode_32 3
		.amdhsa_float_denorm_mode_16_64 3
		.amdhsa_dx10_clamp 1
		.amdhsa_ieee_mode 1
		.amdhsa_fp16_overflow 0
		.amdhsa_workgroup_processor_mode 1
		.amdhsa_memory_ordered 1
		.amdhsa_forward_progress 0
		.amdhsa_shared_vgpr_count 0
		.amdhsa_exception_fp_ieee_invalid_op 0
		.amdhsa_exception_fp_denorm_src 0
		.amdhsa_exception_fp_ieee_div_zero 0
		.amdhsa_exception_fp_ieee_overflow 0
		.amdhsa_exception_fp_ieee_underflow 0
		.amdhsa_exception_fp_ieee_inexact 0
		.amdhsa_exception_int_div_zero 0
	.end_amdhsa_kernel
	.section	.text._Z15fillBlockColEllILi4EEviiPjPKiS2_S2_S2_PKdS0_Pd,"axG",@progbits,_Z15fillBlockColEllILi4EEviiPjPKiS2_S2_S2_PKdS0_Pd,comdat
.Lfunc_end8:
	.size	_Z15fillBlockColEllILi4EEviiPjPKiS2_S2_S2_PKdS0_Pd, .Lfunc_end8-_Z15fillBlockColEllILi4EEviiPjPKiS2_S2_S2_PKdS0_Pd
                                        ; -- End function
	.section	.AMDGPU.csdata,"",@progbits
; Kernel info:
; codeLenInByte = 828
; NumSgprs: 18
; NumVgprs: 20
; ScratchSize: 0
; MemoryBound: 0
; FloatMode: 240
; IeeeMode: 1
; LDSByteSize: 0 bytes/workgroup (compile time only)
; SGPRBlocks: 2
; VGPRBlocks: 2
; NumSGPRsForWavesPerEU: 18
; NumVGPRsForWavesPerEU: 20
; Occupancy: 16
; WaveLimiterHint : 0
; COMPUTE_PGM_RSRC2:SCRATCH_EN: 0
; COMPUTE_PGM_RSRC2:USER_SGPR: 15
; COMPUTE_PGM_RSRC2:TRAP_HANDLER: 0
; COMPUTE_PGM_RSRC2:TGID_X_EN: 1
; COMPUTE_PGM_RSRC2:TGID_Y_EN: 0
; COMPUTE_PGM_RSRC2:TGID_Z_EN: 0
; COMPUTE_PGM_RSRC2:TIDIG_COMP_CNT: 0
	.section	.text._Z15fillBlockColEllILi8EEviiPjPKiS2_S2_S2_PKdS0_Pd,"axG",@progbits,_Z15fillBlockColEllILi8EEviiPjPKiS2_S2_S2_PKdS0_Pd,comdat
	.protected	_Z15fillBlockColEllILi8EEviiPjPKiS2_S2_S2_PKdS0_Pd ; -- Begin function _Z15fillBlockColEllILi8EEviiPjPKiS2_S2_S2_PKdS0_Pd
	.globl	_Z15fillBlockColEllILi8EEviiPjPKiS2_S2_S2_PKdS0_Pd
	.p2align	8
	.type	_Z15fillBlockColEllILi8EEviiPjPKiS2_S2_S2_PKdS0_Pd,@function
_Z15fillBlockColEllILi8EEviiPjPKiS2_S2_S2_PKdS0_Pd: ; @_Z15fillBlockColEllILi8EEviiPjPKiS2_S2_S2_PKdS0_Pd
; %bb.0:
	s_clause 0x1
	s_load_b32 s4, s[0:1], 0x54
	s_load_b64 s[2:3], s[0:1], 0x0
	v_lshrrev_b32_e32 v1, 3, v0
	v_mov_b32_e32 v9, 0
	s_waitcnt lgkmcnt(0)
	s_bfe_u32 s4, s4, 0xd0003
	s_add_i32 s3, s3, -1
	v_mad_u64_u32 v[3:4], null, s15, s4, v[1:2]
	v_mov_b32_e32 v1, s3
	s_delay_alu instid0(VALU_DEP_2)
	v_cmp_gt_i32_e32 vcc_lo, s2, v3
	s_and_saveexec_b32 s3, vcc_lo
	s_cbranch_execz .LBB9_2
; %bb.1:
	s_load_b128 s[4:7], s[0:1], 0x10
	v_ashrrev_i32_e32 v4, 31, v3
	s_delay_alu instid0(VALU_DEP_1) | instskip(SKIP_1) | instid1(VALU_DEP_1)
	v_lshlrev_b64 v[1:2], 2, v[3:4]
	s_waitcnt lgkmcnt(0)
	v_add_co_u32 v4, s2, s4, v1
	s_delay_alu instid0(VALU_DEP_1) | instskip(SKIP_1) | instid1(VALU_DEP_1)
	v_add_co_ci_u32_e64 v5, s2, s5, v2, s2
	v_add_co_u32 v6, s2, s6, v1
	v_add_co_ci_u32_e64 v7, s2, s7, v2, s2
	global_load_b32 v1, v[4:5], off
	global_load_b32 v9, v[6:7], off
.LBB9_2:
	s_or_b32 exec_lo, exec_lo, s3
	s_and_saveexec_b32 s2, vcc_lo
	s_cbranch_execz .LBB9_11
; %bb.3:
	s_clause 0x1
	s_load_b64 s[2:3], s[0:1], 0x8
	s_load_b128 s[4:7], s[0:1], 0x38
	s_waitcnt vmcnt(1)
	v_ashrrev_i32_e32 v2, 31, v1
	v_and_b32_e32 v0, 7, v0
                                        ; implicit-def: $vgpr4
	s_delay_alu instid0(VALU_DEP_2) | instskip(SKIP_1) | instid1(VALU_DEP_1)
	v_lshlrev_b64 v[1:2], 2, v[1:2]
	s_waitcnt lgkmcnt(0)
	v_add_co_u32 v1, vcc_lo, s2, v1
	s_delay_alu instid0(VALU_DEP_2)
	v_add_co_ci_u32_e32 v2, vcc_lo, s3, v2, vcc_lo
	s_mov_b32 s2, exec_lo
	global_load_b64 v[1:2], v[1:2], off
	v_cmpx_gt_u32_e32 2, v0
	s_cbranch_execz .LBB9_5
; %bb.4:
	s_load_b64 s[8:9], s[0:1], 0x20
	v_add_nc_u32_e32 v3, v3, v0
	s_delay_alu instid0(VALU_DEP_1) | instskip(NEXT) | instid1(VALU_DEP_1)
	v_ashrrev_i32_e32 v4, 31, v3
	v_lshlrev_b64 v[3:4], 2, v[3:4]
	s_waitcnt lgkmcnt(0)
	s_delay_alu instid0(VALU_DEP_1) | instskip(NEXT) | instid1(VALU_DEP_2)
	v_add_co_u32 v3, vcc_lo, s8, v3
	v_add_co_ci_u32_e32 v4, vcc_lo, s9, v4, vcc_lo
	global_load_b32 v4, v[3:4], off
.LBB9_5:
	s_or_b32 exec_lo, exec_lo, s2
	v_mbcnt_lo_u32_b32 v3, -1, 0
	s_mov_b32 s3, 0
	s_mov_b32 s2, exec_lo
	s_delay_alu instid0(VALU_DEP_1) | instskip(NEXT) | instid1(VALU_DEP_1)
	v_lshlrev_b32_e32 v3, 2, v3
	v_and_b32_e32 v3, 0x60, v3
	s_waitcnt vmcnt(0)
	ds_bpermute_b32 v10, v3, v4
	ds_bpermute_b32 v11, v3, v4 offset:4
	s_waitcnt lgkmcnt(1)
	v_add_nc_u32_e32 v12, v10, v0
	s_waitcnt lgkmcnt(0)
	s_delay_alu instid0(VALU_DEP_1)
	v_cmpx_lt_i32_e64 v12, v11
	s_cbranch_execz .LBB9_8
; %bb.6:
	s_load_b128 s[8:11], s[0:1], 0x28
	v_ashrrev_i32_e32 v4, 31, v10
	v_add_co_u32 v3, vcc_lo, v10, v0
	v_add_nc_u32_e32 v13, v1, v0
	s_delay_alu instid0(VALU_DEP_3) | instskip(NEXT) | instid1(VALU_DEP_1)
	v_add_co_ci_u32_e32 v4, vcc_lo, 0, v4, vcc_lo
	v_lshlrev_b64 v[5:6], 2, v[3:4]
	v_lshlrev_b64 v[7:8], 3, v[3:4]
	s_waitcnt lgkmcnt(0)
	s_delay_alu instid0(VALU_DEP_2) | instskip(NEXT) | instid1(VALU_DEP_3)
	v_add_co_u32 v3, vcc_lo, s8, v5
	v_add_co_ci_u32_e32 v4, vcc_lo, s9, v6, vcc_lo
	s_delay_alu instid0(VALU_DEP_3) | instskip(NEXT) | instid1(VALU_DEP_4)
	v_add_co_u32 v5, vcc_lo, s10, v7
	v_add_co_ci_u32_e32 v6, vcc_lo, s11, v8, vcc_lo
	v_lshl_add_u32 v7, v13, 5, v9
	s_set_inst_prefetch_distance 0x1
	.p2align	6
.LBB9_7:                                ; =>This Inner Loop Header: Depth=1
	global_load_b32 v19, v[3:4], off
	global_load_b64 v[13:14], v[5:6], off
	v_ashrrev_i32_e32 v8, 31, v7
	v_add_co_u32 v3, vcc_lo, v3, 32
	v_add_nc_u32_e32 v12, 8, v12
	v_add_co_ci_u32_e32 v4, vcc_lo, 0, v4, vcc_lo
	s_delay_alu instid0(VALU_DEP_4) | instskip(SKIP_3) | instid1(VALU_DEP_4)
	v_lshlrev_b64 v[15:16], 2, v[7:8]
	v_lshlrev_b64 v[17:18], 3, v[7:8]
	v_add_co_u32 v5, vcc_lo, v5, 64
	v_add_co_ci_u32_e32 v6, vcc_lo, 0, v6, vcc_lo
	v_add_co_u32 v15, s0, s4, v15
	v_cmp_ge_i32_e32 vcc_lo, v12, v11
	v_add_co_ci_u32_e64 v16, s0, s5, v16, s0
	v_add_co_u32 v17, s0, s6, v17
	v_add_nc_u32_e32 v7, 0x100, v7
	v_add_co_ci_u32_e64 v18, s0, s7, v18, s0
	s_or_b32 s3, vcc_lo, s3
	s_waitcnt vmcnt(1)
	global_store_b32 v[15:16], v19, off
	s_waitcnt vmcnt(0)
	global_store_b64 v[17:18], v[13:14], off
	s_and_not1_b32 exec_lo, exec_lo, s3
	s_cbranch_execnz .LBB9_7
.LBB9_8:
	s_set_inst_prefetch_distance 0x2
	s_or_b32 exec_lo, exec_lo, s2
	v_sub_nc_u32_e32 v3, v0, v10
	v_sub_nc_u32_e32 v4, v2, v1
	s_delay_alu instid0(VALU_DEP_2) | instskip(NEXT) | instid1(VALU_DEP_1)
	v_add_nc_u32_e32 v5, v3, v11
	v_cmp_lt_u32_e32 vcc_lo, v5, v4
	s_and_b32 exec_lo, exec_lo, vcc_lo
	s_cbranch_execz .LBB9_11
; %bb.9:
	v_add3_u32 v0, v11, v1, v0
	s_mov_b32 s1, 0
	s_delay_alu instid0(VALU_DEP_1) | instskip(SKIP_1) | instid1(VALU_DEP_2)
	v_sub_nc_u32_e32 v1, v0, v10
	v_mov_b32_e32 v0, 0
	v_lshl_add_u32 v2, v1, 5, v9
	s_delay_alu instid0(VALU_DEP_2)
	v_mov_b32_e32 v1, v0
	.p2align	6
.LBB9_10:                               ; =>This Inner Loop Header: Depth=1
	s_delay_alu instid0(VALU_DEP_2) | instskip(SKIP_1) | instid1(VALU_DEP_2)
	v_ashrrev_i32_e32 v3, 31, v2
	v_add_nc_u32_e32 v5, 8, v5
	v_lshlrev_b64 v[6:7], 2, v[2:3]
	v_lshlrev_b64 v[8:9], 3, v[2:3]
	s_delay_alu instid0(VALU_DEP_3) | instskip(SKIP_1) | instid1(VALU_DEP_4)
	v_cmp_ge_u32_e32 vcc_lo, v5, v4
	v_add_nc_u32_e32 v2, 0x100, v2
	v_add_co_u32 v6, s0, s4, v6
	s_delay_alu instid0(VALU_DEP_1) | instskip(SKIP_1) | instid1(VALU_DEP_1)
	v_add_co_ci_u32_e64 v7, s0, s5, v7, s0
	v_add_co_u32 v8, s0, s6, v8
	v_add_co_ci_u32_e64 v9, s0, s7, v9, s0
	s_or_b32 s1, vcc_lo, s1
	global_store_b32 v[6:7], v0, off
	global_store_b64 v[8:9], v[0:1], off
	s_and_not1_b32 exec_lo, exec_lo, s1
	s_cbranch_execnz .LBB9_10
.LBB9_11:
	s_nop 0
	s_sendmsg sendmsg(MSG_DEALLOC_VGPRS)
	s_endpgm
	.section	.rodata,"a",@progbits
	.p2align	6, 0x0
	.amdhsa_kernel _Z15fillBlockColEllILi8EEviiPjPKiS2_S2_S2_PKdS0_Pd
		.amdhsa_group_segment_fixed_size 0
		.amdhsa_private_segment_fixed_size 0
		.amdhsa_kernarg_size 328
		.amdhsa_user_sgpr_count 15
		.amdhsa_user_sgpr_dispatch_ptr 0
		.amdhsa_user_sgpr_queue_ptr 0
		.amdhsa_user_sgpr_kernarg_segment_ptr 1
		.amdhsa_user_sgpr_dispatch_id 0
		.amdhsa_user_sgpr_private_segment_size 0
		.amdhsa_wavefront_size32 1
		.amdhsa_uses_dynamic_stack 0
		.amdhsa_enable_private_segment 0
		.amdhsa_system_sgpr_workgroup_id_x 1
		.amdhsa_system_sgpr_workgroup_id_y 0
		.amdhsa_system_sgpr_workgroup_id_z 0
		.amdhsa_system_sgpr_workgroup_info 0
		.amdhsa_system_vgpr_workitem_id 0
		.amdhsa_next_free_vgpr 20
		.amdhsa_next_free_sgpr 16
		.amdhsa_reserve_vcc 1
		.amdhsa_float_round_mode_32 0
		.amdhsa_float_round_mode_16_64 0
		.amdhsa_float_denorm_mode_32 3
		.amdhsa_float_denorm_mode_16_64 3
		.amdhsa_dx10_clamp 1
		.amdhsa_ieee_mode 1
		.amdhsa_fp16_overflow 0
		.amdhsa_workgroup_processor_mode 1
		.amdhsa_memory_ordered 1
		.amdhsa_forward_progress 0
		.amdhsa_shared_vgpr_count 0
		.amdhsa_exception_fp_ieee_invalid_op 0
		.amdhsa_exception_fp_denorm_src 0
		.amdhsa_exception_fp_ieee_div_zero 0
		.amdhsa_exception_fp_ieee_overflow 0
		.amdhsa_exception_fp_ieee_underflow 0
		.amdhsa_exception_fp_ieee_inexact 0
		.amdhsa_exception_int_div_zero 0
	.end_amdhsa_kernel
	.section	.text._Z15fillBlockColEllILi8EEviiPjPKiS2_S2_S2_PKdS0_Pd,"axG",@progbits,_Z15fillBlockColEllILi8EEviiPjPKiS2_S2_S2_PKdS0_Pd,comdat
.Lfunc_end9:
	.size	_Z15fillBlockColEllILi8EEviiPjPKiS2_S2_S2_PKdS0_Pd, .Lfunc_end9-_Z15fillBlockColEllILi8EEviiPjPKiS2_S2_S2_PKdS0_Pd
                                        ; -- End function
	.section	.AMDGPU.csdata,"",@progbits
; Kernel info:
; codeLenInByte = 828
; NumSgprs: 18
; NumVgprs: 20
; ScratchSize: 0
; MemoryBound: 0
; FloatMode: 240
; IeeeMode: 1
; LDSByteSize: 0 bytes/workgroup (compile time only)
; SGPRBlocks: 2
; VGPRBlocks: 2
; NumSGPRsForWavesPerEU: 18
; NumVGPRsForWavesPerEU: 20
; Occupancy: 16
; WaveLimiterHint : 0
; COMPUTE_PGM_RSRC2:SCRATCH_EN: 0
; COMPUTE_PGM_RSRC2:USER_SGPR: 15
; COMPUTE_PGM_RSRC2:TRAP_HANDLER: 0
; COMPUTE_PGM_RSRC2:TGID_X_EN: 1
; COMPUTE_PGM_RSRC2:TGID_Y_EN: 0
; COMPUTE_PGM_RSRC2:TGID_Z_EN: 0
; COMPUTE_PGM_RSRC2:TIDIG_COMP_CNT: 0
	.section	.text._Z15fillBlockColEllILi16EEviiPjPKiS2_S2_S2_PKdS0_Pd,"axG",@progbits,_Z15fillBlockColEllILi16EEviiPjPKiS2_S2_S2_PKdS0_Pd,comdat
	.protected	_Z15fillBlockColEllILi16EEviiPjPKiS2_S2_S2_PKdS0_Pd ; -- Begin function _Z15fillBlockColEllILi16EEviiPjPKiS2_S2_S2_PKdS0_Pd
	.globl	_Z15fillBlockColEllILi16EEviiPjPKiS2_S2_S2_PKdS0_Pd
	.p2align	8
	.type	_Z15fillBlockColEllILi16EEviiPjPKiS2_S2_S2_PKdS0_Pd,@function
_Z15fillBlockColEllILi16EEviiPjPKiS2_S2_S2_PKdS0_Pd: ; @_Z15fillBlockColEllILi16EEviiPjPKiS2_S2_S2_PKdS0_Pd
; %bb.0:
	s_clause 0x1
	s_load_b32 s4, s[0:1], 0x54
	s_load_b64 s[2:3], s[0:1], 0x0
	v_lshrrev_b32_e32 v1, 4, v0
	v_mov_b32_e32 v9, 0
	s_waitcnt lgkmcnt(0)
	s_bfe_u32 s4, s4, 0xc0004
	s_add_i32 s3, s3, -1
	v_mad_u64_u32 v[3:4], null, s15, s4, v[1:2]
	v_mov_b32_e32 v1, s3
	s_delay_alu instid0(VALU_DEP_2)
	v_cmp_gt_i32_e32 vcc_lo, s2, v3
	s_and_saveexec_b32 s3, vcc_lo
	s_cbranch_execz .LBB10_2
; %bb.1:
	s_load_b128 s[4:7], s[0:1], 0x10
	v_ashrrev_i32_e32 v4, 31, v3
	s_delay_alu instid0(VALU_DEP_1) | instskip(SKIP_1) | instid1(VALU_DEP_1)
	v_lshlrev_b64 v[1:2], 2, v[3:4]
	s_waitcnt lgkmcnt(0)
	v_add_co_u32 v4, s2, s4, v1
	s_delay_alu instid0(VALU_DEP_1) | instskip(SKIP_1) | instid1(VALU_DEP_1)
	v_add_co_ci_u32_e64 v5, s2, s5, v2, s2
	v_add_co_u32 v6, s2, s6, v1
	v_add_co_ci_u32_e64 v7, s2, s7, v2, s2
	global_load_b32 v1, v[4:5], off
	global_load_b32 v9, v[6:7], off
.LBB10_2:
	s_or_b32 exec_lo, exec_lo, s3
	s_and_saveexec_b32 s2, vcc_lo
	s_cbranch_execz .LBB10_11
; %bb.3:
	s_clause 0x1
	s_load_b64 s[2:3], s[0:1], 0x8
	s_load_b128 s[4:7], s[0:1], 0x38
	s_waitcnt vmcnt(1)
	v_ashrrev_i32_e32 v2, 31, v1
	v_and_b32_e32 v0, 15, v0
                                        ; implicit-def: $vgpr4
	s_delay_alu instid0(VALU_DEP_2) | instskip(SKIP_1) | instid1(VALU_DEP_1)
	v_lshlrev_b64 v[1:2], 2, v[1:2]
	s_waitcnt lgkmcnt(0)
	v_add_co_u32 v1, vcc_lo, s2, v1
	s_delay_alu instid0(VALU_DEP_2)
	v_add_co_ci_u32_e32 v2, vcc_lo, s3, v2, vcc_lo
	s_mov_b32 s2, exec_lo
	global_load_b64 v[1:2], v[1:2], off
	v_cmpx_gt_u32_e32 2, v0
	s_cbranch_execz .LBB10_5
; %bb.4:
	s_load_b64 s[8:9], s[0:1], 0x20
	v_add_nc_u32_e32 v3, v3, v0
	s_delay_alu instid0(VALU_DEP_1) | instskip(NEXT) | instid1(VALU_DEP_1)
	v_ashrrev_i32_e32 v4, 31, v3
	v_lshlrev_b64 v[3:4], 2, v[3:4]
	s_waitcnt lgkmcnt(0)
	s_delay_alu instid0(VALU_DEP_1) | instskip(NEXT) | instid1(VALU_DEP_2)
	v_add_co_u32 v3, vcc_lo, s8, v3
	v_add_co_ci_u32_e32 v4, vcc_lo, s9, v4, vcc_lo
	global_load_b32 v4, v[3:4], off
.LBB10_5:
	s_or_b32 exec_lo, exec_lo, s2
	v_mbcnt_lo_u32_b32 v3, -1, 0
	s_mov_b32 s3, 0
	s_mov_b32 s2, exec_lo
	s_delay_alu instid0(VALU_DEP_1) | instskip(NEXT) | instid1(VALU_DEP_1)
	v_lshlrev_b32_e32 v3, 2, v3
	v_and_b32_e32 v3, 64, v3
	s_waitcnt vmcnt(0)
	ds_bpermute_b32 v10, v3, v4
	ds_bpermute_b32 v11, v3, v4 offset:4
	s_waitcnt lgkmcnt(1)
	v_add_nc_u32_e32 v12, v10, v0
	s_waitcnt lgkmcnt(0)
	s_delay_alu instid0(VALU_DEP_1)
	v_cmpx_lt_i32_e64 v12, v11
	s_cbranch_execz .LBB10_8
; %bb.6:
	s_load_b128 s[8:11], s[0:1], 0x28
	v_ashrrev_i32_e32 v4, 31, v10
	v_add_co_u32 v3, vcc_lo, v10, v0
	v_add_nc_u32_e32 v13, v1, v0
	s_delay_alu instid0(VALU_DEP_3) | instskip(NEXT) | instid1(VALU_DEP_1)
	v_add_co_ci_u32_e32 v4, vcc_lo, 0, v4, vcc_lo
	v_lshlrev_b64 v[5:6], 2, v[3:4]
	v_lshlrev_b64 v[7:8], 3, v[3:4]
	s_waitcnt lgkmcnt(0)
	s_delay_alu instid0(VALU_DEP_2) | instskip(NEXT) | instid1(VALU_DEP_3)
	v_add_co_u32 v3, vcc_lo, s8, v5
	v_add_co_ci_u32_e32 v4, vcc_lo, s9, v6, vcc_lo
	s_delay_alu instid0(VALU_DEP_3) | instskip(NEXT) | instid1(VALU_DEP_4)
	v_add_co_u32 v5, vcc_lo, s10, v7
	v_add_co_ci_u32_e32 v6, vcc_lo, s11, v8, vcc_lo
	v_lshl_add_u32 v7, v13, 5, v9
	s_set_inst_prefetch_distance 0x1
	.p2align	6
.LBB10_7:                               ; =>This Inner Loop Header: Depth=1
	global_load_b32 v19, v[3:4], off
	global_load_b64 v[13:14], v[5:6], off
	v_ashrrev_i32_e32 v8, 31, v7
	v_add_co_u32 v3, vcc_lo, v3, 64
	v_add_nc_u32_e32 v12, 16, v12
	v_add_co_ci_u32_e32 v4, vcc_lo, 0, v4, vcc_lo
	s_delay_alu instid0(VALU_DEP_4) | instskip(SKIP_3) | instid1(VALU_DEP_4)
	v_lshlrev_b64 v[15:16], 2, v[7:8]
	v_lshlrev_b64 v[17:18], 3, v[7:8]
	v_add_co_u32 v5, vcc_lo, 0x80, v5
	v_add_co_ci_u32_e32 v6, vcc_lo, 0, v6, vcc_lo
	v_add_co_u32 v15, s0, s4, v15
	v_cmp_ge_i32_e32 vcc_lo, v12, v11
	v_add_co_ci_u32_e64 v16, s0, s5, v16, s0
	v_add_co_u32 v17, s0, s6, v17
	v_add_nc_u32_e32 v7, 0x200, v7
	v_add_co_ci_u32_e64 v18, s0, s7, v18, s0
	s_or_b32 s3, vcc_lo, s3
	s_waitcnt vmcnt(1)
	global_store_b32 v[15:16], v19, off
	s_waitcnt vmcnt(0)
	global_store_b64 v[17:18], v[13:14], off
	s_and_not1_b32 exec_lo, exec_lo, s3
	s_cbranch_execnz .LBB10_7
.LBB10_8:
	s_set_inst_prefetch_distance 0x2
	s_or_b32 exec_lo, exec_lo, s2
	v_sub_nc_u32_e32 v3, v0, v10
	v_sub_nc_u32_e32 v4, v2, v1
	s_delay_alu instid0(VALU_DEP_2) | instskip(NEXT) | instid1(VALU_DEP_1)
	v_add_nc_u32_e32 v5, v3, v11
	v_cmp_lt_u32_e32 vcc_lo, v5, v4
	s_and_b32 exec_lo, exec_lo, vcc_lo
	s_cbranch_execz .LBB10_11
; %bb.9:
	v_add3_u32 v0, v11, v1, v0
	s_mov_b32 s1, 0
	s_delay_alu instid0(VALU_DEP_1) | instskip(SKIP_1) | instid1(VALU_DEP_2)
	v_sub_nc_u32_e32 v1, v0, v10
	v_mov_b32_e32 v0, 0
	v_lshl_add_u32 v2, v1, 5, v9
	s_delay_alu instid0(VALU_DEP_2)
	v_mov_b32_e32 v1, v0
	.p2align	6
.LBB10_10:                              ; =>This Inner Loop Header: Depth=1
	s_delay_alu instid0(VALU_DEP_2) | instskip(SKIP_1) | instid1(VALU_DEP_2)
	v_ashrrev_i32_e32 v3, 31, v2
	v_add_nc_u32_e32 v5, 16, v5
	v_lshlrev_b64 v[6:7], 2, v[2:3]
	v_lshlrev_b64 v[8:9], 3, v[2:3]
	s_delay_alu instid0(VALU_DEP_3) | instskip(SKIP_1) | instid1(VALU_DEP_4)
	v_cmp_ge_u32_e32 vcc_lo, v5, v4
	v_add_nc_u32_e32 v2, 0x200, v2
	v_add_co_u32 v6, s0, s4, v6
	s_delay_alu instid0(VALU_DEP_1) | instskip(SKIP_1) | instid1(VALU_DEP_1)
	v_add_co_ci_u32_e64 v7, s0, s5, v7, s0
	v_add_co_u32 v8, s0, s6, v8
	v_add_co_ci_u32_e64 v9, s0, s7, v9, s0
	s_or_b32 s1, vcc_lo, s1
	global_store_b32 v[6:7], v0, off
	global_store_b64 v[8:9], v[0:1], off
	s_and_not1_b32 exec_lo, exec_lo, s1
	s_cbranch_execnz .LBB10_10
.LBB10_11:
	s_nop 0
	s_sendmsg sendmsg(MSG_DEALLOC_VGPRS)
	s_endpgm
	.section	.rodata,"a",@progbits
	.p2align	6, 0x0
	.amdhsa_kernel _Z15fillBlockColEllILi16EEviiPjPKiS2_S2_S2_PKdS0_Pd
		.amdhsa_group_segment_fixed_size 0
		.amdhsa_private_segment_fixed_size 0
		.amdhsa_kernarg_size 328
		.amdhsa_user_sgpr_count 15
		.amdhsa_user_sgpr_dispatch_ptr 0
		.amdhsa_user_sgpr_queue_ptr 0
		.amdhsa_user_sgpr_kernarg_segment_ptr 1
		.amdhsa_user_sgpr_dispatch_id 0
		.amdhsa_user_sgpr_private_segment_size 0
		.amdhsa_wavefront_size32 1
		.amdhsa_uses_dynamic_stack 0
		.amdhsa_enable_private_segment 0
		.amdhsa_system_sgpr_workgroup_id_x 1
		.amdhsa_system_sgpr_workgroup_id_y 0
		.amdhsa_system_sgpr_workgroup_id_z 0
		.amdhsa_system_sgpr_workgroup_info 0
		.amdhsa_system_vgpr_workitem_id 0
		.amdhsa_next_free_vgpr 20
		.amdhsa_next_free_sgpr 16
		.amdhsa_reserve_vcc 1
		.amdhsa_float_round_mode_32 0
		.amdhsa_float_round_mode_16_64 0
		.amdhsa_float_denorm_mode_32 3
		.amdhsa_float_denorm_mode_16_64 3
		.amdhsa_dx10_clamp 1
		.amdhsa_ieee_mode 1
		.amdhsa_fp16_overflow 0
		.amdhsa_workgroup_processor_mode 1
		.amdhsa_memory_ordered 1
		.amdhsa_forward_progress 0
		.amdhsa_shared_vgpr_count 0
		.amdhsa_exception_fp_ieee_invalid_op 0
		.amdhsa_exception_fp_denorm_src 0
		.amdhsa_exception_fp_ieee_div_zero 0
		.amdhsa_exception_fp_ieee_overflow 0
		.amdhsa_exception_fp_ieee_underflow 0
		.amdhsa_exception_fp_ieee_inexact 0
		.amdhsa_exception_int_div_zero 0
	.end_amdhsa_kernel
	.section	.text._Z15fillBlockColEllILi16EEviiPjPKiS2_S2_S2_PKdS0_Pd,"axG",@progbits,_Z15fillBlockColEllILi16EEviiPjPKiS2_S2_S2_PKdS0_Pd,comdat
.Lfunc_end10:
	.size	_Z15fillBlockColEllILi16EEviiPjPKiS2_S2_S2_PKdS0_Pd, .Lfunc_end10-_Z15fillBlockColEllILi16EEviiPjPKiS2_S2_S2_PKdS0_Pd
                                        ; -- End function
	.section	.AMDGPU.csdata,"",@progbits
; Kernel info:
; codeLenInByte = 828
; NumSgprs: 18
; NumVgprs: 20
; ScratchSize: 0
; MemoryBound: 0
; FloatMode: 240
; IeeeMode: 1
; LDSByteSize: 0 bytes/workgroup (compile time only)
; SGPRBlocks: 2
; VGPRBlocks: 2
; NumSGPRsForWavesPerEU: 18
; NumVGPRsForWavesPerEU: 20
; Occupancy: 16
; WaveLimiterHint : 0
; COMPUTE_PGM_RSRC2:SCRATCH_EN: 0
; COMPUTE_PGM_RSRC2:USER_SGPR: 15
; COMPUTE_PGM_RSRC2:TRAP_HANDLER: 0
; COMPUTE_PGM_RSRC2:TGID_X_EN: 1
; COMPUTE_PGM_RSRC2:TGID_Y_EN: 0
; COMPUTE_PGM_RSRC2:TGID_Z_EN: 0
; COMPUTE_PGM_RSRC2:TIDIG_COMP_CNT: 0
	.section	.text._Z15fillBlockColEllILi32EEviiPjPKiS2_S2_S2_PKdS0_Pd,"axG",@progbits,_Z15fillBlockColEllILi32EEviiPjPKiS2_S2_S2_PKdS0_Pd,comdat
	.protected	_Z15fillBlockColEllILi32EEviiPjPKiS2_S2_S2_PKdS0_Pd ; -- Begin function _Z15fillBlockColEllILi32EEviiPjPKiS2_S2_S2_PKdS0_Pd
	.globl	_Z15fillBlockColEllILi32EEviiPjPKiS2_S2_S2_PKdS0_Pd
	.p2align	8
	.type	_Z15fillBlockColEllILi32EEviiPjPKiS2_S2_S2_PKdS0_Pd,@function
_Z15fillBlockColEllILi32EEviiPjPKiS2_S2_S2_PKdS0_Pd: ; @_Z15fillBlockColEllILi32EEviiPjPKiS2_S2_S2_PKdS0_Pd
; %bb.0:
	s_clause 0x1
	s_load_b32 s4, s[0:1], 0x54
	s_load_b64 s[2:3], s[0:1], 0x0
	v_lshrrev_b32_e32 v1, 5, v0
	v_mov_b32_e32 v9, 0
	s_waitcnt lgkmcnt(0)
	s_bfe_u32 s4, s4, 0xb0005
	s_add_i32 s3, s3, -1
	v_mad_u64_u32 v[3:4], null, s15, s4, v[1:2]
	v_mov_b32_e32 v1, s3
	s_delay_alu instid0(VALU_DEP_2)
	v_cmp_gt_i32_e32 vcc_lo, s2, v3
	s_and_saveexec_b32 s3, vcc_lo
	s_cbranch_execz .LBB11_2
; %bb.1:
	s_load_b128 s[4:7], s[0:1], 0x10
	v_ashrrev_i32_e32 v4, 31, v3
	s_delay_alu instid0(VALU_DEP_1) | instskip(SKIP_1) | instid1(VALU_DEP_1)
	v_lshlrev_b64 v[1:2], 2, v[3:4]
	s_waitcnt lgkmcnt(0)
	v_add_co_u32 v4, s2, s4, v1
	s_delay_alu instid0(VALU_DEP_1) | instskip(SKIP_1) | instid1(VALU_DEP_1)
	v_add_co_ci_u32_e64 v5, s2, s5, v2, s2
	v_add_co_u32 v6, s2, s6, v1
	v_add_co_ci_u32_e64 v7, s2, s7, v2, s2
	global_load_b32 v1, v[4:5], off
	global_load_b32 v9, v[6:7], off
.LBB11_2:
	s_or_b32 exec_lo, exec_lo, s3
	s_and_saveexec_b32 s2, vcc_lo
	s_cbranch_execz .LBB11_11
; %bb.3:
	s_clause 0x1
	s_load_b64 s[2:3], s[0:1], 0x8
	s_load_b128 s[4:7], s[0:1], 0x38
	s_waitcnt vmcnt(1)
	v_ashrrev_i32_e32 v2, 31, v1
	v_and_b32_e32 v0, 31, v0
                                        ; implicit-def: $vgpr4
	s_delay_alu instid0(VALU_DEP_2) | instskip(SKIP_1) | instid1(VALU_DEP_1)
	v_lshlrev_b64 v[1:2], 2, v[1:2]
	s_waitcnt lgkmcnt(0)
	v_add_co_u32 v1, vcc_lo, s2, v1
	s_delay_alu instid0(VALU_DEP_2)
	v_add_co_ci_u32_e32 v2, vcc_lo, s3, v2, vcc_lo
	s_mov_b32 s2, exec_lo
	global_load_b64 v[1:2], v[1:2], off
	v_cmpx_gt_u32_e32 2, v0
	s_cbranch_execz .LBB11_5
; %bb.4:
	s_load_b64 s[8:9], s[0:1], 0x20
	v_add_nc_u32_e32 v3, v3, v0
	s_delay_alu instid0(VALU_DEP_1) | instskip(NEXT) | instid1(VALU_DEP_1)
	v_ashrrev_i32_e32 v4, 31, v3
	v_lshlrev_b64 v[3:4], 2, v[3:4]
	s_waitcnt lgkmcnt(0)
	s_delay_alu instid0(VALU_DEP_1) | instskip(NEXT) | instid1(VALU_DEP_2)
	v_add_co_u32 v3, vcc_lo, s8, v3
	v_add_co_ci_u32_e32 v4, vcc_lo, s9, v4, vcc_lo
	global_load_b32 v4, v[3:4], off
.LBB11_5:
	s_or_b32 exec_lo, exec_lo, s2
	v_mov_b32_e32 v3, 0
	s_mov_b32 s2, exec_lo
	s_waitcnt vmcnt(0)
	ds_bpermute_b32 v10, v3, v4
	s_waitcnt lgkmcnt(0)
	v_add_nc_u32_e32 v12, v10, v0
	ds_bpermute_b32 v11, v3, v4 offset:4
	s_waitcnt lgkmcnt(0)
	v_cmpx_lt_i32_e64 v12, v11
	s_cbranch_execz .LBB11_8
; %bb.6:
	s_load_b128 s[8:11], s[0:1], 0x28
	v_ashrrev_i32_e32 v4, 31, v10
	v_add_co_u32 v3, vcc_lo, v10, v0
	v_add_nc_u32_e32 v13, v1, v0
	s_mov_b32 s1, 0
	s_delay_alu instid0(VALU_DEP_3) | instskip(NEXT) | instid1(VALU_DEP_1)
	v_add_co_ci_u32_e32 v4, vcc_lo, 0, v4, vcc_lo
	v_lshlrev_b64 v[5:6], 2, v[3:4]
	v_lshlrev_b64 v[7:8], 3, v[3:4]
	s_waitcnt lgkmcnt(0)
	s_delay_alu instid0(VALU_DEP_2) | instskip(NEXT) | instid1(VALU_DEP_3)
	v_add_co_u32 v3, vcc_lo, s8, v5
	v_add_co_ci_u32_e32 v4, vcc_lo, s9, v6, vcc_lo
	s_delay_alu instid0(VALU_DEP_3) | instskip(NEXT) | instid1(VALU_DEP_4)
	v_add_co_u32 v5, vcc_lo, s10, v7
	v_add_co_ci_u32_e32 v6, vcc_lo, s11, v8, vcc_lo
	v_lshl_add_u32 v7, v13, 5, v9
	s_set_inst_prefetch_distance 0x1
	.p2align	6
.LBB11_7:                               ; =>This Inner Loop Header: Depth=1
	global_load_b32 v19, v[3:4], off
	global_load_b64 v[13:14], v[5:6], off
	v_ashrrev_i32_e32 v8, 31, v7
	v_add_co_u32 v3, vcc_lo, 0x80, v3
	v_add_nc_u32_e32 v12, 32, v12
	v_add_co_ci_u32_e32 v4, vcc_lo, 0, v4, vcc_lo
	s_delay_alu instid0(VALU_DEP_4) | instskip(SKIP_3) | instid1(VALU_DEP_4)
	v_lshlrev_b64 v[15:16], 2, v[7:8]
	v_lshlrev_b64 v[17:18], 3, v[7:8]
	v_add_co_u32 v5, vcc_lo, 0x100, v5
	v_add_co_ci_u32_e32 v6, vcc_lo, 0, v6, vcc_lo
	v_add_co_u32 v15, s0, s4, v15
	v_cmp_ge_i32_e32 vcc_lo, v12, v11
	v_add_co_ci_u32_e64 v16, s0, s5, v16, s0
	v_add_co_u32 v17, s0, s6, v17
	v_add_nc_u32_e32 v7, 0x400, v7
	v_add_co_ci_u32_e64 v18, s0, s7, v18, s0
	s_or_b32 s1, vcc_lo, s1
	s_waitcnt vmcnt(1)
	global_store_b32 v[15:16], v19, off
	s_waitcnt vmcnt(0)
	global_store_b64 v[17:18], v[13:14], off
	s_and_not1_b32 exec_lo, exec_lo, s1
	s_cbranch_execnz .LBB11_7
.LBB11_8:
	s_set_inst_prefetch_distance 0x2
	s_or_b32 exec_lo, exec_lo, s2
	v_sub_nc_u32_e32 v3, v0, v10
	v_sub_nc_u32_e32 v4, v2, v1
	s_delay_alu instid0(VALU_DEP_2) | instskip(NEXT) | instid1(VALU_DEP_1)
	v_add_nc_u32_e32 v5, v3, v11
	v_cmp_lt_u32_e32 vcc_lo, v5, v4
	s_and_b32 exec_lo, exec_lo, vcc_lo
	s_cbranch_execz .LBB11_11
; %bb.9:
	v_add3_u32 v0, v11, v1, v0
	s_mov_b32 s1, 0
	s_delay_alu instid0(VALU_DEP_1) | instskip(SKIP_1) | instid1(VALU_DEP_2)
	v_sub_nc_u32_e32 v1, v0, v10
	v_mov_b32_e32 v0, 0
	v_lshl_add_u32 v2, v1, 5, v9
	s_delay_alu instid0(VALU_DEP_2)
	v_mov_b32_e32 v1, v0
	.p2align	6
.LBB11_10:                              ; =>This Inner Loop Header: Depth=1
	s_delay_alu instid0(VALU_DEP_2) | instskip(SKIP_1) | instid1(VALU_DEP_2)
	v_ashrrev_i32_e32 v3, 31, v2
	v_add_nc_u32_e32 v5, 32, v5
	v_lshlrev_b64 v[6:7], 2, v[2:3]
	v_lshlrev_b64 v[8:9], 3, v[2:3]
	s_delay_alu instid0(VALU_DEP_3) | instskip(SKIP_1) | instid1(VALU_DEP_4)
	v_cmp_ge_u32_e32 vcc_lo, v5, v4
	v_add_nc_u32_e32 v2, 0x400, v2
	v_add_co_u32 v6, s0, s4, v6
	s_delay_alu instid0(VALU_DEP_1) | instskip(SKIP_1) | instid1(VALU_DEP_1)
	v_add_co_ci_u32_e64 v7, s0, s5, v7, s0
	v_add_co_u32 v8, s0, s6, v8
	v_add_co_ci_u32_e64 v9, s0, s7, v9, s0
	s_or_b32 s1, vcc_lo, s1
	global_store_b32 v[6:7], v0, off
	global_store_b64 v[8:9], v[0:1], off
	s_and_not1_b32 exec_lo, exec_lo, s1
	s_cbranch_execnz .LBB11_10
.LBB11_11:
	s_nop 0
	s_sendmsg sendmsg(MSG_DEALLOC_VGPRS)
	s_endpgm
	.section	.rodata,"a",@progbits
	.p2align	6, 0x0
	.amdhsa_kernel _Z15fillBlockColEllILi32EEviiPjPKiS2_S2_S2_PKdS0_Pd
		.amdhsa_group_segment_fixed_size 0
		.amdhsa_private_segment_fixed_size 0
		.amdhsa_kernarg_size 328
		.amdhsa_user_sgpr_count 15
		.amdhsa_user_sgpr_dispatch_ptr 0
		.amdhsa_user_sgpr_queue_ptr 0
		.amdhsa_user_sgpr_kernarg_segment_ptr 1
		.amdhsa_user_sgpr_dispatch_id 0
		.amdhsa_user_sgpr_private_segment_size 0
		.amdhsa_wavefront_size32 1
		.amdhsa_uses_dynamic_stack 0
		.amdhsa_enable_private_segment 0
		.amdhsa_system_sgpr_workgroup_id_x 1
		.amdhsa_system_sgpr_workgroup_id_y 0
		.amdhsa_system_sgpr_workgroup_id_z 0
		.amdhsa_system_sgpr_workgroup_info 0
		.amdhsa_system_vgpr_workitem_id 0
		.amdhsa_next_free_vgpr 20
		.amdhsa_next_free_sgpr 16
		.amdhsa_reserve_vcc 1
		.amdhsa_float_round_mode_32 0
		.amdhsa_float_round_mode_16_64 0
		.amdhsa_float_denorm_mode_32 3
		.amdhsa_float_denorm_mode_16_64 3
		.amdhsa_dx10_clamp 1
		.amdhsa_ieee_mode 1
		.amdhsa_fp16_overflow 0
		.amdhsa_workgroup_processor_mode 1
		.amdhsa_memory_ordered 1
		.amdhsa_forward_progress 0
		.amdhsa_shared_vgpr_count 0
		.amdhsa_exception_fp_ieee_invalid_op 0
		.amdhsa_exception_fp_denorm_src 0
		.amdhsa_exception_fp_ieee_div_zero 0
		.amdhsa_exception_fp_ieee_overflow 0
		.amdhsa_exception_fp_ieee_underflow 0
		.amdhsa_exception_fp_ieee_inexact 0
		.amdhsa_exception_int_div_zero 0
	.end_amdhsa_kernel
	.section	.text._Z15fillBlockColEllILi32EEviiPjPKiS2_S2_S2_PKdS0_Pd,"axG",@progbits,_Z15fillBlockColEllILi32EEviiPjPKiS2_S2_S2_PKdS0_Pd,comdat
.Lfunc_end11:
	.size	_Z15fillBlockColEllILi32EEviiPjPKiS2_S2_S2_PKdS0_Pd, .Lfunc_end11-_Z15fillBlockColEllILi32EEviiPjPKiS2_S2_S2_PKdS0_Pd
                                        ; -- End function
	.section	.AMDGPU.csdata,"",@progbits
; Kernel info:
; codeLenInByte = 812
; NumSgprs: 18
; NumVgprs: 20
; ScratchSize: 0
; MemoryBound: 0
; FloatMode: 240
; IeeeMode: 1
; LDSByteSize: 0 bytes/workgroup (compile time only)
; SGPRBlocks: 2
; VGPRBlocks: 2
; NumSGPRsForWavesPerEU: 18
; NumVGPRsForWavesPerEU: 20
; Occupancy: 16
; WaveLimiterHint : 0
; COMPUTE_PGM_RSRC2:SCRATCH_EN: 0
; COMPUTE_PGM_RSRC2:USER_SGPR: 15
; COMPUTE_PGM_RSRC2:TRAP_HANDLER: 0
; COMPUTE_PGM_RSRC2:TGID_X_EN: 1
; COMPUTE_PGM_RSRC2:TGID_Y_EN: 0
; COMPUTE_PGM_RSRC2:TGID_Z_EN: 0
; COMPUTE_PGM_RSRC2:TIDIG_COMP_CNT: 0
	.section	.text._Z15fillBlockColEllILi64EEviiPjPKiS2_S2_S2_PKdS0_Pd,"axG",@progbits,_Z15fillBlockColEllILi64EEviiPjPKiS2_S2_S2_PKdS0_Pd,comdat
	.protected	_Z15fillBlockColEllILi64EEviiPjPKiS2_S2_S2_PKdS0_Pd ; -- Begin function _Z15fillBlockColEllILi64EEviiPjPKiS2_S2_S2_PKdS0_Pd
	.globl	_Z15fillBlockColEllILi64EEviiPjPKiS2_S2_S2_PKdS0_Pd
	.p2align	8
	.type	_Z15fillBlockColEllILi64EEviiPjPKiS2_S2_S2_PKdS0_Pd,@function
_Z15fillBlockColEllILi64EEviiPjPKiS2_S2_S2_PKdS0_Pd: ; @_Z15fillBlockColEllILi64EEviiPjPKiS2_S2_S2_PKdS0_Pd
; %bb.0:
	s_clause 0x1
	s_load_b32 s4, s[0:1], 0x54
	s_load_b64 s[2:3], s[0:1], 0x0
	v_lshrrev_b32_e32 v1, 6, v0
	v_mov_b32_e32 v9, 0
	s_waitcnt lgkmcnt(0)
	s_bfe_u32 s4, s4, 0xa0006
	s_add_i32 s3, s3, -1
	v_mad_u64_u32 v[3:4], null, s15, s4, v[1:2]
	v_mov_b32_e32 v1, s3
	s_delay_alu instid0(VALU_DEP_2)
	v_cmp_gt_i32_e32 vcc_lo, s2, v3
	s_and_saveexec_b32 s3, vcc_lo
	s_cbranch_execz .LBB12_2
; %bb.1:
	s_load_b128 s[4:7], s[0:1], 0x10
	v_ashrrev_i32_e32 v4, 31, v3
	s_delay_alu instid0(VALU_DEP_1) | instskip(SKIP_1) | instid1(VALU_DEP_1)
	v_lshlrev_b64 v[1:2], 2, v[3:4]
	s_waitcnt lgkmcnt(0)
	v_add_co_u32 v4, s2, s4, v1
	s_delay_alu instid0(VALU_DEP_1) | instskip(SKIP_1) | instid1(VALU_DEP_1)
	v_add_co_ci_u32_e64 v5, s2, s5, v2, s2
	v_add_co_u32 v6, s2, s6, v1
	v_add_co_ci_u32_e64 v7, s2, s7, v2, s2
	global_load_b32 v1, v[4:5], off
	global_load_b32 v9, v[6:7], off
.LBB12_2:
	s_or_b32 exec_lo, exec_lo, s3
	s_and_saveexec_b32 s2, vcc_lo
	s_cbranch_execz .LBB12_11
; %bb.3:
	s_clause 0x1
	s_load_b64 s[2:3], s[0:1], 0x8
	s_load_b128 s[4:7], s[0:1], 0x38
	s_waitcnt vmcnt(1)
	v_ashrrev_i32_e32 v2, 31, v1
	v_and_b32_e32 v0, 63, v0
                                        ; implicit-def: $vgpr4
	s_delay_alu instid0(VALU_DEP_2) | instskip(SKIP_1) | instid1(VALU_DEP_1)
	v_lshlrev_b64 v[1:2], 2, v[1:2]
	s_waitcnt lgkmcnt(0)
	v_add_co_u32 v1, vcc_lo, s2, v1
	s_delay_alu instid0(VALU_DEP_2)
	v_add_co_ci_u32_e32 v2, vcc_lo, s3, v2, vcc_lo
	s_mov_b32 s2, exec_lo
	global_load_b64 v[1:2], v[1:2], off
	v_cmpx_gt_u32_e32 2, v0
	s_cbranch_execz .LBB12_5
; %bb.4:
	s_load_b64 s[8:9], s[0:1], 0x20
	v_add_nc_u32_e32 v3, v3, v0
	s_delay_alu instid0(VALU_DEP_1) | instskip(NEXT) | instid1(VALU_DEP_1)
	v_ashrrev_i32_e32 v4, 31, v3
	v_lshlrev_b64 v[3:4], 2, v[3:4]
	s_waitcnt lgkmcnt(0)
	s_delay_alu instid0(VALU_DEP_1) | instskip(NEXT) | instid1(VALU_DEP_2)
	v_add_co_u32 v3, vcc_lo, s8, v3
	v_add_co_ci_u32_e32 v4, vcc_lo, s9, v4, vcc_lo
	global_load_b32 v4, v[3:4], off
.LBB12_5:
	s_or_b32 exec_lo, exec_lo, s2
	v_mov_b32_e32 v3, 0
	s_mov_b32 s2, exec_lo
	s_waitcnt vmcnt(0)
	ds_bpermute_b32 v10, v3, v4
	s_waitcnt lgkmcnt(0)
	v_add_nc_u32_e32 v12, v10, v0
	ds_bpermute_b32 v11, v3, v4 offset:4
	s_waitcnt lgkmcnt(0)
	v_cmpx_lt_i32_e64 v12, v11
	s_cbranch_execz .LBB12_8
; %bb.6:
	s_load_b128 s[8:11], s[0:1], 0x28
	v_ashrrev_i32_e32 v4, 31, v10
	v_add_co_u32 v3, vcc_lo, v10, v0
	v_add_nc_u32_e32 v13, v1, v0
	s_mov_b32 s1, 0
	s_delay_alu instid0(VALU_DEP_3) | instskip(NEXT) | instid1(VALU_DEP_1)
	v_add_co_ci_u32_e32 v4, vcc_lo, 0, v4, vcc_lo
	v_lshlrev_b64 v[5:6], 2, v[3:4]
	v_lshlrev_b64 v[7:8], 3, v[3:4]
	s_waitcnt lgkmcnt(0)
	s_delay_alu instid0(VALU_DEP_2) | instskip(NEXT) | instid1(VALU_DEP_3)
	v_add_co_u32 v3, vcc_lo, s8, v5
	v_add_co_ci_u32_e32 v4, vcc_lo, s9, v6, vcc_lo
	s_delay_alu instid0(VALU_DEP_3) | instskip(NEXT) | instid1(VALU_DEP_4)
	v_add_co_u32 v5, vcc_lo, s10, v7
	v_add_co_ci_u32_e32 v6, vcc_lo, s11, v8, vcc_lo
	v_lshl_add_u32 v7, v13, 5, v9
	s_set_inst_prefetch_distance 0x1
	.p2align	6
.LBB12_7:                               ; =>This Inner Loop Header: Depth=1
	global_load_b32 v19, v[3:4], off
	global_load_b64 v[13:14], v[5:6], off
	v_ashrrev_i32_e32 v8, 31, v7
	v_add_co_u32 v3, vcc_lo, 0x100, v3
	v_add_nc_u32_e32 v12, 64, v12
	v_add_co_ci_u32_e32 v4, vcc_lo, 0, v4, vcc_lo
	s_delay_alu instid0(VALU_DEP_4) | instskip(SKIP_3) | instid1(VALU_DEP_4)
	v_lshlrev_b64 v[15:16], 2, v[7:8]
	v_lshlrev_b64 v[17:18], 3, v[7:8]
	v_add_co_u32 v5, vcc_lo, 0x200, v5
	v_add_co_ci_u32_e32 v6, vcc_lo, 0, v6, vcc_lo
	v_add_co_u32 v15, s0, s4, v15
	v_cmp_ge_i32_e32 vcc_lo, v12, v11
	v_add_co_ci_u32_e64 v16, s0, s5, v16, s0
	v_add_co_u32 v17, s0, s6, v17
	v_add_nc_u32_e32 v7, 0x800, v7
	v_add_co_ci_u32_e64 v18, s0, s7, v18, s0
	s_or_b32 s1, vcc_lo, s1
	s_waitcnt vmcnt(1)
	global_store_b32 v[15:16], v19, off
	s_waitcnt vmcnt(0)
	global_store_b64 v[17:18], v[13:14], off
	s_and_not1_b32 exec_lo, exec_lo, s1
	s_cbranch_execnz .LBB12_7
.LBB12_8:
	s_set_inst_prefetch_distance 0x2
	s_or_b32 exec_lo, exec_lo, s2
	v_sub_nc_u32_e32 v3, v0, v10
	v_sub_nc_u32_e32 v4, v2, v1
	s_delay_alu instid0(VALU_DEP_2) | instskip(NEXT) | instid1(VALU_DEP_1)
	v_add_nc_u32_e32 v5, v3, v11
	v_cmp_lt_u32_e32 vcc_lo, v5, v4
	s_and_b32 exec_lo, exec_lo, vcc_lo
	s_cbranch_execz .LBB12_11
; %bb.9:
	v_add3_u32 v0, v11, v1, v0
	s_mov_b32 s1, 0
	s_delay_alu instid0(VALU_DEP_1) | instskip(SKIP_1) | instid1(VALU_DEP_2)
	v_sub_nc_u32_e32 v1, v0, v10
	v_mov_b32_e32 v0, 0
	v_lshl_add_u32 v2, v1, 5, v9
	s_delay_alu instid0(VALU_DEP_2)
	v_mov_b32_e32 v1, v0
	.p2align	6
.LBB12_10:                              ; =>This Inner Loop Header: Depth=1
	s_delay_alu instid0(VALU_DEP_2) | instskip(SKIP_1) | instid1(VALU_DEP_2)
	v_ashrrev_i32_e32 v3, 31, v2
	v_add_nc_u32_e32 v5, 64, v5
	v_lshlrev_b64 v[6:7], 2, v[2:3]
	v_lshlrev_b64 v[8:9], 3, v[2:3]
	s_delay_alu instid0(VALU_DEP_3) | instskip(SKIP_1) | instid1(VALU_DEP_4)
	v_cmp_ge_u32_e32 vcc_lo, v5, v4
	v_add_nc_u32_e32 v2, 0x800, v2
	v_add_co_u32 v6, s0, s4, v6
	s_delay_alu instid0(VALU_DEP_1) | instskip(SKIP_1) | instid1(VALU_DEP_1)
	v_add_co_ci_u32_e64 v7, s0, s5, v7, s0
	v_add_co_u32 v8, s0, s6, v8
	v_add_co_ci_u32_e64 v9, s0, s7, v9, s0
	s_or_b32 s1, vcc_lo, s1
	global_store_b32 v[6:7], v0, off
	global_store_b64 v[8:9], v[0:1], off
	s_and_not1_b32 exec_lo, exec_lo, s1
	s_cbranch_execnz .LBB12_10
.LBB12_11:
	s_nop 0
	s_sendmsg sendmsg(MSG_DEALLOC_VGPRS)
	s_endpgm
	.section	.rodata,"a",@progbits
	.p2align	6, 0x0
	.amdhsa_kernel _Z15fillBlockColEllILi64EEviiPjPKiS2_S2_S2_PKdS0_Pd
		.amdhsa_group_segment_fixed_size 0
		.amdhsa_private_segment_fixed_size 0
		.amdhsa_kernarg_size 328
		.amdhsa_user_sgpr_count 15
		.amdhsa_user_sgpr_dispatch_ptr 0
		.amdhsa_user_sgpr_queue_ptr 0
		.amdhsa_user_sgpr_kernarg_segment_ptr 1
		.amdhsa_user_sgpr_dispatch_id 0
		.amdhsa_user_sgpr_private_segment_size 0
		.amdhsa_wavefront_size32 1
		.amdhsa_uses_dynamic_stack 0
		.amdhsa_enable_private_segment 0
		.amdhsa_system_sgpr_workgroup_id_x 1
		.amdhsa_system_sgpr_workgroup_id_y 0
		.amdhsa_system_sgpr_workgroup_id_z 0
		.amdhsa_system_sgpr_workgroup_info 0
		.amdhsa_system_vgpr_workitem_id 0
		.amdhsa_next_free_vgpr 20
		.amdhsa_next_free_sgpr 16
		.amdhsa_reserve_vcc 1
		.amdhsa_float_round_mode_32 0
		.amdhsa_float_round_mode_16_64 0
		.amdhsa_float_denorm_mode_32 3
		.amdhsa_float_denorm_mode_16_64 3
		.amdhsa_dx10_clamp 1
		.amdhsa_ieee_mode 1
		.amdhsa_fp16_overflow 0
		.amdhsa_workgroup_processor_mode 1
		.amdhsa_memory_ordered 1
		.amdhsa_forward_progress 0
		.amdhsa_shared_vgpr_count 0
		.amdhsa_exception_fp_ieee_invalid_op 0
		.amdhsa_exception_fp_denorm_src 0
		.amdhsa_exception_fp_ieee_div_zero 0
		.amdhsa_exception_fp_ieee_overflow 0
		.amdhsa_exception_fp_ieee_underflow 0
		.amdhsa_exception_fp_ieee_inexact 0
		.amdhsa_exception_int_div_zero 0
	.end_amdhsa_kernel
	.section	.text._Z15fillBlockColEllILi64EEviiPjPKiS2_S2_S2_PKdS0_Pd,"axG",@progbits,_Z15fillBlockColEllILi64EEviiPjPKiS2_S2_S2_PKdS0_Pd,comdat
.Lfunc_end12:
	.size	_Z15fillBlockColEllILi64EEviiPjPKiS2_S2_S2_PKdS0_Pd, .Lfunc_end12-_Z15fillBlockColEllILi64EEviiPjPKiS2_S2_S2_PKdS0_Pd
                                        ; -- End function
	.section	.AMDGPU.csdata,"",@progbits
; Kernel info:
; codeLenInByte = 812
; NumSgprs: 18
; NumVgprs: 20
; ScratchSize: 0
; MemoryBound: 0
; FloatMode: 240
; IeeeMode: 1
; LDSByteSize: 0 bytes/workgroup (compile time only)
; SGPRBlocks: 2
; VGPRBlocks: 2
; NumSGPRsForWavesPerEU: 18
; NumVGPRsForWavesPerEU: 20
; Occupancy: 16
; WaveLimiterHint : 0
; COMPUTE_PGM_RSRC2:SCRATCH_EN: 0
; COMPUTE_PGM_RSRC2:USER_SGPR: 15
; COMPUTE_PGM_RSRC2:TRAP_HANDLER: 0
; COMPUTE_PGM_RSRC2:TGID_X_EN: 1
; COMPUTE_PGM_RSRC2:TGID_Y_EN: 0
; COMPUTE_PGM_RSRC2:TGID_Z_EN: 0
; COMPUTE_PGM_RSRC2:TIDIG_COMP_CNT: 0
	.section	.text._Z22blocked_ellpack_kernelILi5EEvjjPKjS1_PKdS3_Pddd,"axG",@progbits,_Z22blocked_ellpack_kernelILi5EEvjjPKjS1_PKdS3_Pddd,comdat
	.protected	_Z22blocked_ellpack_kernelILi5EEvjjPKjS1_PKdS3_Pddd ; -- Begin function _Z22blocked_ellpack_kernelILi5EEvjjPKjS1_PKdS3_Pddd
	.globl	_Z22blocked_ellpack_kernelILi5EEvjjPKjS1_PKdS3_Pddd
	.p2align	8
	.type	_Z22blocked_ellpack_kernelILi5EEvjjPKjS1_PKdS3_Pddd,@function
_Z22blocked_ellpack_kernelILi5EEvjjPKjS1_PKdS3_Pddd: ; @_Z22blocked_ellpack_kernelILi5EEvjjPKjS1_PKdS3_Pddd
; %bb.0:
	s_clause 0x1
	s_load_b32 s4, s[0:1], 0x4c
	s_load_b64 s[2:3], s[0:1], 0x0
	s_waitcnt lgkmcnt(0)
	s_and_b32 s4, s4, 0xffff
	s_delay_alu instid0(SALU_CYCLE_1) | instskip(NEXT) | instid1(VALU_DEP_1)
	v_mad_u64_u32 v[1:2], null, s15, s4, v[0:1]
	v_lshrrev_b32_e32 v0, 5, v1
	s_delay_alu instid0(VALU_DEP_1)
	v_cmp_gt_u32_e32 vcc_lo, s3, v0
	s_and_saveexec_b32 s3, vcc_lo
	s_cbranch_execz .LBB13_9
; %bb.1:
	v_cmp_gt_u32_e32 vcc_lo, s2, v1
	s_and_b32 exec_lo, exec_lo, vcc_lo
	s_cbranch_execz .LBB13_9
; %bb.2:
	s_clause 0x1
	s_load_b64 s[2:3], s[0:1], 0x8
	s_load_b64 s[4:5], s[0:1], 0x28
	v_lshlrev_b32_e32 v0, 2, v0
	v_and_b32_e32 v4, 31, v1
	s_waitcnt lgkmcnt(0)
	global_load_b64 v[2:3], v0, s[2:3]
	s_mov_b32 s3, exec_lo
	s_waitcnt vmcnt(0)
	v_lshl_or_b32 v2, v2, 5, v4
	v_mov_b32_e32 v4, 0
	v_dual_mov_b32 v5, 0 :: v_dual_lshlrev_b32 v0, 5, v3
	s_delay_alu instid0(VALU_DEP_1)
	v_cmpx_lt_u32_e64 v2, v0
	s_cbranch_execz .LBB13_6
; %bb.3:
	s_clause 0x1
	s_load_b128 s[8:11], s[0:1], 0x10
	s_load_b64 s[6:7], s[0:1], 0x20
	v_dual_mov_b32 v7, 0 :: v_dual_mov_b32 v4, 0
	v_mov_b32_e32 v5, 0
	s_delay_alu instid0(VALU_DEP_2) | instskip(NEXT) | instid1(VALU_DEP_1)
	v_mov_b32_e32 v3, v7
	v_lshlrev_b64 v[8:9], 3, v[2:3]
	v_lshlrev_b64 v[10:11], 2, v[2:3]
	s_waitcnt lgkmcnt(0)
	s_delay_alu instid0(VALU_DEP_2) | instskip(NEXT) | instid1(VALU_DEP_3)
	v_add_co_u32 v8, vcc_lo, s10, v8
	v_add_co_ci_u32_e32 v9, vcc_lo, s11, v9, vcc_lo
	s_delay_alu instid0(VALU_DEP_3) | instskip(NEXT) | instid1(VALU_DEP_4)
	v_add_co_u32 v10, vcc_lo, s8, v10
	v_add_co_ci_u32_e32 v11, vcc_lo, s9, v11, vcc_lo
	s_mov_b32 s8, 0
	.p2align	6
.LBB13_4:                               ; =>This Inner Loop Header: Depth=1
	global_load_b32 v6, v[10:11], off
	v_add_nc_u32_e32 v2, 32, v2
	v_add_co_u32 v10, s2, 0x80, v10
	s_delay_alu instid0(VALU_DEP_1) | instskip(SKIP_2) | instid1(VALU_DEP_1)
	v_add_co_ci_u32_e64 v11, s2, 0, v11, s2
	s_waitcnt vmcnt(0)
	v_lshlrev_b64 v[12:13], 3, v[6:7]
	v_add_co_u32 v12, vcc_lo, s6, v12
	s_delay_alu instid0(VALU_DEP_2)
	v_add_co_ci_u32_e32 v13, vcc_lo, s7, v13, vcc_lo
	global_load_b64 v[14:15], v[8:9], off
	global_load_b64 v[12:13], v[12:13], off
	v_add_co_u32 v8, vcc_lo, 0x100, v8
	v_add_co_ci_u32_e32 v9, vcc_lo, 0, v9, vcc_lo
	v_cmp_ge_u32_e32 vcc_lo, v2, v0
	s_or_b32 s8, vcc_lo, s8
	s_waitcnt vmcnt(0)
	v_fma_f64 v[4:5], v[14:15], v[12:13], v[4:5]
	s_and_not1_b32 exec_lo, exec_lo, s8
	s_cbranch_execnz .LBB13_4
; %bb.5:
	s_or_b32 exec_lo, exec_lo, s8
.LBB13_6:
	s_delay_alu instid0(SALU_CYCLE_1) | instskip(SKIP_2) | instid1(VALU_DEP_1)
	s_or_b32 exec_lo, exec_lo, s3
	s_load_b128 s[0:3], s[0:1], 0x30
	v_mov_b32_e32 v2, 0
	v_lshlrev_b64 v[0:1], 3, v[1:2]
	s_delay_alu instid0(VALU_DEP_1) | instskip(NEXT) | instid1(VALU_DEP_2)
	v_add_co_u32 v0, vcc_lo, s4, v0
	v_add_co_ci_u32_e32 v1, vcc_lo, s5, v1, vcc_lo
	s_waitcnt lgkmcnt(0)
	v_cmp_eq_f64_e64 s6, s[2:3], 0
	v_mul_f64 v[3:4], v[4:5], s[0:1]
	s_delay_alu instid0(VALU_DEP_2)
	s_and_b32 vcc_lo, exec_lo, s6
	s_cbranch_vccnz .LBB13_8
; %bb.7:
	global_load_b64 v[5:6], v[0:1], off
	s_waitcnt vmcnt(0)
	v_fma_f64 v[3:4], v[5:6], s[2:3], v[3:4]
.LBB13_8:
	global_store_b64 v[0:1], v[3:4], off
.LBB13_9:
	s_nop 0
	s_sendmsg sendmsg(MSG_DEALLOC_VGPRS)
	s_endpgm
	.section	.rodata,"a",@progbits
	.p2align	6, 0x0
	.amdhsa_kernel _Z22blocked_ellpack_kernelILi5EEvjjPKjS1_PKdS3_Pddd
		.amdhsa_group_segment_fixed_size 0
		.amdhsa_private_segment_fixed_size 0
		.amdhsa_kernarg_size 320
		.amdhsa_user_sgpr_count 15
		.amdhsa_user_sgpr_dispatch_ptr 0
		.amdhsa_user_sgpr_queue_ptr 0
		.amdhsa_user_sgpr_kernarg_segment_ptr 1
		.amdhsa_user_sgpr_dispatch_id 0
		.amdhsa_user_sgpr_private_segment_size 0
		.amdhsa_wavefront_size32 1
		.amdhsa_uses_dynamic_stack 0
		.amdhsa_enable_private_segment 0
		.amdhsa_system_sgpr_workgroup_id_x 1
		.amdhsa_system_sgpr_workgroup_id_y 0
		.amdhsa_system_sgpr_workgroup_id_z 0
		.amdhsa_system_sgpr_workgroup_info 0
		.amdhsa_system_vgpr_workitem_id 0
		.amdhsa_next_free_vgpr 16
		.amdhsa_next_free_sgpr 16
		.amdhsa_reserve_vcc 1
		.amdhsa_float_round_mode_32 0
		.amdhsa_float_round_mode_16_64 0
		.amdhsa_float_denorm_mode_32 3
		.amdhsa_float_denorm_mode_16_64 3
		.amdhsa_dx10_clamp 1
		.amdhsa_ieee_mode 1
		.amdhsa_fp16_overflow 0
		.amdhsa_workgroup_processor_mode 1
		.amdhsa_memory_ordered 1
		.amdhsa_forward_progress 0
		.amdhsa_shared_vgpr_count 0
		.amdhsa_exception_fp_ieee_invalid_op 0
		.amdhsa_exception_fp_denorm_src 0
		.amdhsa_exception_fp_ieee_div_zero 0
		.amdhsa_exception_fp_ieee_overflow 0
		.amdhsa_exception_fp_ieee_underflow 0
		.amdhsa_exception_fp_ieee_inexact 0
		.amdhsa_exception_int_div_zero 0
	.end_amdhsa_kernel
	.section	.text._Z22blocked_ellpack_kernelILi5EEvjjPKjS1_PKdS3_Pddd,"axG",@progbits,_Z22blocked_ellpack_kernelILi5EEvjjPKjS1_PKdS3_Pddd,comdat
.Lfunc_end13:
	.size	_Z22blocked_ellpack_kernelILi5EEvjjPKjS1_PKdS3_Pddd, .Lfunc_end13-_Z22blocked_ellpack_kernelILi5EEvjjPKjS1_PKdS3_Pddd
                                        ; -- End function
	.section	.AMDGPU.csdata,"",@progbits
; Kernel info:
; codeLenInByte = 500
; NumSgprs: 18
; NumVgprs: 16
; ScratchSize: 0
; MemoryBound: 0
; FloatMode: 240
; IeeeMode: 1
; LDSByteSize: 0 bytes/workgroup (compile time only)
; SGPRBlocks: 2
; VGPRBlocks: 1
; NumSGPRsForWavesPerEU: 18
; NumVGPRsForWavesPerEU: 16
; Occupancy: 16
; WaveLimiterHint : 1
; COMPUTE_PGM_RSRC2:SCRATCH_EN: 0
; COMPUTE_PGM_RSRC2:USER_SGPR: 15
; COMPUTE_PGM_RSRC2:TRAP_HANDLER: 0
; COMPUTE_PGM_RSRC2:TGID_X_EN: 1
; COMPUTE_PGM_RSRC2:TGID_Y_EN: 0
; COMPUTE_PGM_RSRC2:TGID_Z_EN: 0
; COMPUTE_PGM_RSRC2:TIDIG_COMP_CNT: 0
	.section	.text._Z22blocked_ellpack_kernelILi6EEvjjPKjS1_PKdS3_Pddd,"axG",@progbits,_Z22blocked_ellpack_kernelILi6EEvjjPKjS1_PKdS3_Pddd,comdat
	.protected	_Z22blocked_ellpack_kernelILi6EEvjjPKjS1_PKdS3_Pddd ; -- Begin function _Z22blocked_ellpack_kernelILi6EEvjjPKjS1_PKdS3_Pddd
	.globl	_Z22blocked_ellpack_kernelILi6EEvjjPKjS1_PKdS3_Pddd
	.p2align	8
	.type	_Z22blocked_ellpack_kernelILi6EEvjjPKjS1_PKdS3_Pddd,@function
_Z22blocked_ellpack_kernelILi6EEvjjPKjS1_PKdS3_Pddd: ; @_Z22blocked_ellpack_kernelILi6EEvjjPKjS1_PKdS3_Pddd
; %bb.0:
	s_clause 0x1
	s_load_b32 s4, s[0:1], 0x4c
	s_load_b64 s[2:3], s[0:1], 0x0
	s_waitcnt lgkmcnt(0)
	s_and_b32 s4, s4, 0xffff
	s_delay_alu instid0(SALU_CYCLE_1) | instskip(NEXT) | instid1(VALU_DEP_1)
	v_mad_u64_u32 v[1:2], null, s15, s4, v[0:1]
	v_lshrrev_b32_e32 v0, 6, v1
	s_delay_alu instid0(VALU_DEP_1)
	v_cmp_gt_u32_e32 vcc_lo, s3, v0
	s_and_saveexec_b32 s3, vcc_lo
	s_cbranch_execz .LBB14_9
; %bb.1:
	v_cmp_gt_u32_e32 vcc_lo, s2, v1
	s_and_b32 exec_lo, exec_lo, vcc_lo
	s_cbranch_execz .LBB14_9
; %bb.2:
	s_clause 0x1
	s_load_b64 s[2:3], s[0:1], 0x8
	s_load_b64 s[4:5], s[0:1], 0x28
	v_lshlrev_b32_e32 v0, 2, v0
	v_and_b32_e32 v4, 31, v1
	s_waitcnt lgkmcnt(0)
	global_load_b64 v[2:3], v0, s[2:3]
	s_mov_b32 s3, exec_lo
	s_waitcnt vmcnt(0)
	v_lshl_or_b32 v2, v2, 6, v4
	v_mov_b32_e32 v4, 0
	v_dual_mov_b32 v5, 0 :: v_dual_lshlrev_b32 v0, 6, v3
	s_delay_alu instid0(VALU_DEP_1)
	v_cmpx_lt_u32_e64 v2, v0
	s_cbranch_execz .LBB14_6
; %bb.3:
	s_clause 0x1
	s_load_b128 s[8:11], s[0:1], 0x10
	s_load_b64 s[6:7], s[0:1], 0x20
	v_dual_mov_b32 v7, 0 :: v_dual_mov_b32 v4, 0
	v_mov_b32_e32 v5, 0
	s_delay_alu instid0(VALU_DEP_2) | instskip(NEXT) | instid1(VALU_DEP_1)
	v_mov_b32_e32 v3, v7
	v_lshlrev_b64 v[8:9], 3, v[2:3]
	v_lshlrev_b64 v[10:11], 2, v[2:3]
	s_waitcnt lgkmcnt(0)
	s_delay_alu instid0(VALU_DEP_2) | instskip(NEXT) | instid1(VALU_DEP_3)
	v_add_co_u32 v8, vcc_lo, s10, v8
	v_add_co_ci_u32_e32 v9, vcc_lo, s11, v9, vcc_lo
	s_delay_alu instid0(VALU_DEP_3) | instskip(NEXT) | instid1(VALU_DEP_4)
	v_add_co_u32 v10, vcc_lo, s8, v10
	v_add_co_ci_u32_e32 v11, vcc_lo, s9, v11, vcc_lo
	s_mov_b32 s8, 0
	.p2align	6
.LBB14_4:                               ; =>This Inner Loop Header: Depth=1
	global_load_b32 v6, v[10:11], off
	v_add_nc_u32_e32 v2, 32, v2
	v_add_co_u32 v10, s2, 0x80, v10
	s_delay_alu instid0(VALU_DEP_1) | instskip(SKIP_2) | instid1(VALU_DEP_1)
	v_add_co_ci_u32_e64 v11, s2, 0, v11, s2
	s_waitcnt vmcnt(0)
	v_lshlrev_b64 v[12:13], 3, v[6:7]
	v_add_co_u32 v12, vcc_lo, s6, v12
	s_delay_alu instid0(VALU_DEP_2)
	v_add_co_ci_u32_e32 v13, vcc_lo, s7, v13, vcc_lo
	global_load_b64 v[14:15], v[8:9], off
	global_load_b64 v[12:13], v[12:13], off
	v_add_co_u32 v8, vcc_lo, 0x100, v8
	v_add_co_ci_u32_e32 v9, vcc_lo, 0, v9, vcc_lo
	v_cmp_ge_u32_e32 vcc_lo, v2, v0
	s_or_b32 s8, vcc_lo, s8
	s_waitcnt vmcnt(0)
	v_fma_f64 v[4:5], v[14:15], v[12:13], v[4:5]
	s_and_not1_b32 exec_lo, exec_lo, s8
	s_cbranch_execnz .LBB14_4
; %bb.5:
	s_or_b32 exec_lo, exec_lo, s8
.LBB14_6:
	s_delay_alu instid0(SALU_CYCLE_1) | instskip(SKIP_2) | instid1(VALU_DEP_1)
	s_or_b32 exec_lo, exec_lo, s3
	s_load_b128 s[0:3], s[0:1], 0x30
	v_mov_b32_e32 v2, 0
	v_lshlrev_b64 v[0:1], 3, v[1:2]
	s_delay_alu instid0(VALU_DEP_1) | instskip(NEXT) | instid1(VALU_DEP_2)
	v_add_co_u32 v0, vcc_lo, s4, v0
	v_add_co_ci_u32_e32 v1, vcc_lo, s5, v1, vcc_lo
	s_waitcnt lgkmcnt(0)
	v_cmp_eq_f64_e64 s6, s[2:3], 0
	v_mul_f64 v[3:4], v[4:5], s[0:1]
	s_delay_alu instid0(VALU_DEP_2)
	s_and_b32 vcc_lo, exec_lo, s6
	s_cbranch_vccnz .LBB14_8
; %bb.7:
	global_load_b64 v[5:6], v[0:1], off
	s_waitcnt vmcnt(0)
	v_fma_f64 v[3:4], v[5:6], s[2:3], v[3:4]
.LBB14_8:
	global_store_b64 v[0:1], v[3:4], off
.LBB14_9:
	s_nop 0
	s_sendmsg sendmsg(MSG_DEALLOC_VGPRS)
	s_endpgm
	.section	.rodata,"a",@progbits
	.p2align	6, 0x0
	.amdhsa_kernel _Z22blocked_ellpack_kernelILi6EEvjjPKjS1_PKdS3_Pddd
		.amdhsa_group_segment_fixed_size 0
		.amdhsa_private_segment_fixed_size 0
		.amdhsa_kernarg_size 320
		.amdhsa_user_sgpr_count 15
		.amdhsa_user_sgpr_dispatch_ptr 0
		.amdhsa_user_sgpr_queue_ptr 0
		.amdhsa_user_sgpr_kernarg_segment_ptr 1
		.amdhsa_user_sgpr_dispatch_id 0
		.amdhsa_user_sgpr_private_segment_size 0
		.amdhsa_wavefront_size32 1
		.amdhsa_uses_dynamic_stack 0
		.amdhsa_enable_private_segment 0
		.amdhsa_system_sgpr_workgroup_id_x 1
		.amdhsa_system_sgpr_workgroup_id_y 0
		.amdhsa_system_sgpr_workgroup_id_z 0
		.amdhsa_system_sgpr_workgroup_info 0
		.amdhsa_system_vgpr_workitem_id 0
		.amdhsa_next_free_vgpr 16
		.amdhsa_next_free_sgpr 16
		.amdhsa_reserve_vcc 1
		.amdhsa_float_round_mode_32 0
		.amdhsa_float_round_mode_16_64 0
		.amdhsa_float_denorm_mode_32 3
		.amdhsa_float_denorm_mode_16_64 3
		.amdhsa_dx10_clamp 1
		.amdhsa_ieee_mode 1
		.amdhsa_fp16_overflow 0
		.amdhsa_workgroup_processor_mode 1
		.amdhsa_memory_ordered 1
		.amdhsa_forward_progress 0
		.amdhsa_shared_vgpr_count 0
		.amdhsa_exception_fp_ieee_invalid_op 0
		.amdhsa_exception_fp_denorm_src 0
		.amdhsa_exception_fp_ieee_div_zero 0
		.amdhsa_exception_fp_ieee_overflow 0
		.amdhsa_exception_fp_ieee_underflow 0
		.amdhsa_exception_fp_ieee_inexact 0
		.amdhsa_exception_int_div_zero 0
	.end_amdhsa_kernel
	.section	.text._Z22blocked_ellpack_kernelILi6EEvjjPKjS1_PKdS3_Pddd,"axG",@progbits,_Z22blocked_ellpack_kernelILi6EEvjjPKjS1_PKdS3_Pddd,comdat
.Lfunc_end14:
	.size	_Z22blocked_ellpack_kernelILi6EEvjjPKjS1_PKdS3_Pddd, .Lfunc_end14-_Z22blocked_ellpack_kernelILi6EEvjjPKjS1_PKdS3_Pddd
                                        ; -- End function
	.section	.AMDGPU.csdata,"",@progbits
; Kernel info:
; codeLenInByte = 500
; NumSgprs: 18
; NumVgprs: 16
; ScratchSize: 0
; MemoryBound: 0
; FloatMode: 240
; IeeeMode: 1
; LDSByteSize: 0 bytes/workgroup (compile time only)
; SGPRBlocks: 2
; VGPRBlocks: 1
; NumSGPRsForWavesPerEU: 18
; NumVGPRsForWavesPerEU: 16
; Occupancy: 16
; WaveLimiterHint : 1
; COMPUTE_PGM_RSRC2:SCRATCH_EN: 0
; COMPUTE_PGM_RSRC2:USER_SGPR: 15
; COMPUTE_PGM_RSRC2:TRAP_HANDLER: 0
; COMPUTE_PGM_RSRC2:TGID_X_EN: 1
; COMPUTE_PGM_RSRC2:TGID_Y_EN: 0
; COMPUTE_PGM_RSRC2:TGID_Z_EN: 0
; COMPUTE_PGM_RSRC2:TIDIG_COMP_CNT: 0
	.text
	.p2alignl 7, 3214868480
	.fill 96, 4, 3214868480
	.type	__hip_cuid_a2084a973af616b6,@object ; @__hip_cuid_a2084a973af616b6
	.section	.bss,"aw",@nobits
	.globl	__hip_cuid_a2084a973af616b6
__hip_cuid_a2084a973af616b6:
	.byte	0                               ; 0x0
	.size	__hip_cuid_a2084a973af616b6, 1

	.ident	"AMD clang version 19.0.0git (https://github.com/RadeonOpenCompute/llvm-project roc-6.4.0 25133 c7fe45cf4b819c5991fe208aaa96edf142730f1d)"
	.section	".note.GNU-stack","",@progbits
	.addrsig
	.addrsig_sym __hip_cuid_a2084a973af616b6
	.amdgpu_metadata
---
amdhsa.kernels:
  - .args:
      - .offset:         0
        .size:           4
        .value_kind:     by_value
      - .offset:         4
        .size:           4
        .value_kind:     by_value
      - .actual_access:  read_only
        .address_space:  global
        .offset:         8
        .size:           8
        .value_kind:     global_buffer
      - .actual_access:  write_only
        .address_space:  global
        .offset:         16
        .size:           8
        .value_kind:     global_buffer
      - .actual_access:  write_only
        .address_space:  global
        .offset:         24
        .size:           8
        .value_kind:     global_buffer
      - .actual_access:  write_only
        .address_space:  global
        .offset:         32
        .size:           8
        .value_kind:     global_buffer
      - .offset:         40
        .size:           4
        .value_kind:     hidden_block_count_x
      - .offset:         44
        .size:           4
        .value_kind:     hidden_block_count_y
      - .offset:         48
        .size:           4
        .value_kind:     hidden_block_count_z
      - .offset:         52
        .size:           2
        .value_kind:     hidden_group_size_x
      - .offset:         54
        .size:           2
        .value_kind:     hidden_group_size_y
      - .offset:         56
        .size:           2
        .value_kind:     hidden_group_size_z
      - .offset:         58
        .size:           2
        .value_kind:     hidden_remainder_x
      - .offset:         60
        .size:           2
        .value_kind:     hidden_remainder_y
      - .offset:         62
        .size:           2
        .value_kind:     hidden_remainder_z
      - .offset:         80
        .size:           8
        .value_kind:     hidden_global_offset_x
      - .offset:         88
        .size:           8
        .value_kind:     hidden_global_offset_y
      - .offset:         96
        .size:           8
        .value_kind:     hidden_global_offset_z
      - .offset:         104
        .size:           2
        .value_kind:     hidden_grid_dims
    .group_segment_fixed_size: 0
    .kernarg_segment_align: 8
    .kernarg_segment_size: 296
    .language:       OpenCL C
    .language_version:
      - 2
      - 0
    .max_flat_workgroup_size: 1024
    .name:           _Z27computeMaxNnzPerRowPerBlockiiPKiPjPiS2_
    .private_segment_fixed_size: 0
    .sgpr_count:     18
    .sgpr_spill_count: 0
    .symbol:         _Z27computeMaxNnzPerRowPerBlockiiPKiPjPiS2_.kd
    .uniform_work_group_size: 1
    .uses_dynamic_stack: false
    .vgpr_count:     12
    .vgpr_spill_count: 0
    .wavefront_size: 32
    .workgroup_processor_mode: 1
  - .args:
      - .address_space:  global
        .offset:         0
        .size:           8
        .value_kind:     global_buffer
      - .offset:         8
        .size:           4
        .value_kind:     by_value
      - .offset:         12
        .size:           4
        .value_kind:     by_value
      - .address_space:  global
        .offset:         16
        .size:           8
        .value_kind:     global_buffer
      - .offset:         24
        .size:           4
        .value_kind:     hidden_block_count_x
      - .offset:         28
        .size:           4
        .value_kind:     hidden_block_count_y
      - .offset:         32
        .size:           4
        .value_kind:     hidden_block_count_z
      - .offset:         36
        .size:           2
        .value_kind:     hidden_group_size_x
      - .offset:         38
        .size:           2
        .value_kind:     hidden_group_size_y
      - .offset:         40
        .size:           2
        .value_kind:     hidden_group_size_z
      - .offset:         42
        .size:           2
        .value_kind:     hidden_remainder_x
      - .offset:         44
        .size:           2
        .value_kind:     hidden_remainder_y
      - .offset:         46
        .size:           2
        .value_kind:     hidden_remainder_z
      - .offset:         64
        .size:           8
        .value_kind:     hidden_global_offset_x
      - .offset:         72
        .size:           8
        .value_kind:     hidden_global_offset_y
      - .offset:         80
        .size:           8
        .value_kind:     hidden_global_offset_z
      - .offset:         88
        .size:           2
        .value_kind:     hidden_grid_dims
    .group_segment_fixed_size: 0
    .kernarg_segment_align: 8
    .kernarg_segment_size: 280
    .language:       OpenCL C
    .language_version:
      - 2
      - 0
    .max_flat_workgroup_size: 256
    .name:           _ZN7rocprim6detail31init_lookback_scan_state_kernelINS0_19lookback_scan_stateIjLb1ELb1EEEEEvT_jjPNS4_10value_typeE
    .private_segment_fixed_size: 0
    .sgpr_count:     18
    .sgpr_spill_count: 0
    .symbol:         _ZN7rocprim6detail31init_lookback_scan_state_kernelINS0_19lookback_scan_stateIjLb1ELb1EEEEEvT_jjPNS4_10value_typeE.kd
    .uniform_work_group_size: 1
    .uses_dynamic_stack: false
    .vgpr_count:     6
    .vgpr_spill_count: 0
    .wavefront_size: 32
    .workgroup_processor_mode: 1
  - .args:
      - .address_space:  global
        .offset:         0
        .size:           8
        .value_kind:     global_buffer
      - .offset:         8
        .size:           4
        .value_kind:     by_value
      - .offset:         12
        .size:           4
        .value_kind:     by_value
      - .address_space:  global
        .offset:         16
        .size:           8
        .value_kind:     global_buffer
      - .offset:         24
        .size:           4
        .value_kind:     hidden_block_count_x
      - .offset:         28
        .size:           4
        .value_kind:     hidden_block_count_y
      - .offset:         32
        .size:           4
        .value_kind:     hidden_block_count_z
      - .offset:         36
        .size:           2
        .value_kind:     hidden_group_size_x
      - .offset:         38
        .size:           2
        .value_kind:     hidden_group_size_y
      - .offset:         40
        .size:           2
        .value_kind:     hidden_group_size_z
      - .offset:         42
        .size:           2
        .value_kind:     hidden_remainder_x
      - .offset:         44
        .size:           2
        .value_kind:     hidden_remainder_y
      - .offset:         46
        .size:           2
        .value_kind:     hidden_remainder_z
      - .offset:         64
        .size:           8
        .value_kind:     hidden_global_offset_x
      - .offset:         72
        .size:           8
        .value_kind:     hidden_global_offset_y
      - .offset:         80
        .size:           8
        .value_kind:     hidden_global_offset_z
      - .offset:         88
        .size:           2
        .value_kind:     hidden_grid_dims
    .group_segment_fixed_size: 0
    .kernarg_segment_align: 8
    .kernarg_segment_size: 280
    .language:       OpenCL C
    .language_version:
      - 2
      - 0
    .max_flat_workgroup_size: 256
    .name:           _ZN7rocprim6detail31init_lookback_scan_state_kernelINS0_19lookback_scan_stateIjLb0ELb1EEEEEvT_jjPNS4_10value_typeE
    .private_segment_fixed_size: 0
    .sgpr_count:     18
    .sgpr_spill_count: 0
    .symbol:         _ZN7rocprim6detail31init_lookback_scan_state_kernelINS0_19lookback_scan_stateIjLb0ELb1EEEEEvT_jjPNS4_10value_typeE.kd
    .uniform_work_group_size: 1
    .uses_dynamic_stack: false
    .vgpr_count:     6
    .vgpr_spill_count: 0
    .wavefront_size: 32
    .workgroup_processor_mode: 1
  - .args:
      - .address_space:  global
        .offset:         0
        .size:           8
        .value_kind:     global_buffer
      - .address_space:  global
        .offset:         8
        .size:           8
        .value_kind:     global_buffer
      - .offset:         16
        .size:           8
        .value_kind:     by_value
      - .offset:         24
        .size:           4
        .value_kind:     by_value
      - .offset:         28
        .size:           1
        .value_kind:     by_value
      - .address_space:  global
        .offset:         32
        .size:           8
        .value_kind:     global_buffer
      - .offset:         40
        .size:           4
        .value_kind:     by_value
      - .address_space:  global
        .offset:         48
        .size:           8
        .value_kind:     global_buffer
      - .address_space:  global
        .offset:         56
        .size:           8
        .value_kind:     global_buffer
      - .offset:         64
        .size:           1
        .value_kind:     by_value
      - .offset:         65
        .size:           1
        .value_kind:     by_value
    .group_segment_fixed_size: 0
    .kernarg_segment_align: 8
    .kernarg_segment_size: 68
    .language:       OpenCL C
    .language_version:
      - 2
      - 0
    .max_flat_workgroup_size: 64
    .name:           _ZN7rocprim6detail20lookback_scan_kernelILNS0_25lookback_scan_determinismE0ELb1ENS0_19wrapped_scan_configINS_14default_configEjEEPjS6_N6thrust4plusIvEEjjNS0_19lookback_scan_stateIjLb1ELb1EEEEEvT2_T3_mT5_T4_T7_jPT6_SI_bb
    .private_segment_fixed_size: 0
    .sgpr_count:     0
    .sgpr_spill_count: 0
    .symbol:         _ZN7rocprim6detail20lookback_scan_kernelILNS0_25lookback_scan_determinismE0ELb1ENS0_19wrapped_scan_configINS_14default_configEjEEPjS6_N6thrust4plusIvEEjjNS0_19lookback_scan_stateIjLb1ELb1EEEEEvT2_T3_mT5_T4_T7_jPT6_SI_bb.kd
    .uniform_work_group_size: 1
    .uses_dynamic_stack: false
    .vgpr_count:     0
    .vgpr_spill_count: 0
    .wavefront_size: 32
    .workgroup_processor_mode: 1
  - .args:
      - .address_space:  global
        .offset:         0
        .size:           8
        .value_kind:     global_buffer
      - .address_space:  global
        .offset:         8
        .size:           8
        .value_kind:     global_buffer
      - .offset:         16
        .size:           8
        .value_kind:     by_value
      - .offset:         24
        .size:           4
        .value_kind:     by_value
      - .offset:         28
        .size:           1
        .value_kind:     by_value
      - .address_space:  global
        .offset:         32
        .size:           8
        .value_kind:     global_buffer
      - .offset:         40
        .size:           4
        .value_kind:     by_value
      - .address_space:  global
        .offset:         48
        .size:           8
        .value_kind:     global_buffer
      - .address_space:  global
        .offset:         56
        .size:           8
        .value_kind:     global_buffer
      - .offset:         64
        .size:           1
        .value_kind:     by_value
      - .offset:         65
        .size:           1
        .value_kind:     by_value
    .group_segment_fixed_size: 4224
    .kernarg_segment_align: 8
    .kernarg_segment_size: 68
    .language:       OpenCL C
    .language_version:
      - 2
      - 0
    .max_flat_workgroup_size: 64
    .name:           _ZN7rocprim6detail20lookback_scan_kernelILNS0_25lookback_scan_determinismE0ELb1ENS0_19wrapped_scan_configINS_14default_configEjEEPjS6_N6thrust4plusIvEEjjNS0_19lookback_scan_stateIjLb0ELb1EEEEEvT2_T3_mT5_T4_T7_jPT6_SI_bb
    .private_segment_fixed_size: 0
    .sgpr_count:     37
    .sgpr_spill_count: 0
    .symbol:         _ZN7rocprim6detail20lookback_scan_kernelILNS0_25lookback_scan_determinismE0ELb1ENS0_19wrapped_scan_configINS_14default_configEjEEPjS6_N6thrust4plusIvEEjjNS0_19lookback_scan_stateIjLb0ELb1EEEEEvT2_T3_mT5_T4_T7_jPT6_SI_bb.kd
    .uniform_work_group_size: 1
    .uses_dynamic_stack: false
    .vgpr_count:     57
    .vgpr_spill_count: 0
    .wavefront_size: 32
    .workgroup_processor_mode: 1
  - .args:
      - .address_space:  global
        .offset:         0
        .size:           8
        .value_kind:     global_buffer
      - .offset:         8
        .size:           8
        .value_kind:     by_value
      - .address_space:  global
        .offset:         16
        .size:           8
        .value_kind:     global_buffer
      - .offset:         24
        .size:           1
        .value_kind:     by_value
      - .offset:         32
        .size:           4
        .value_kind:     hidden_block_count_x
      - .offset:         36
        .size:           4
        .value_kind:     hidden_block_count_y
      - .offset:         40
        .size:           4
        .value_kind:     hidden_block_count_z
      - .offset:         44
        .size:           2
        .value_kind:     hidden_group_size_x
      - .offset:         46
        .size:           2
        .value_kind:     hidden_group_size_y
      - .offset:         48
        .size:           2
        .value_kind:     hidden_group_size_z
      - .offset:         50
        .size:           2
        .value_kind:     hidden_remainder_x
      - .offset:         52
        .size:           2
        .value_kind:     hidden_remainder_y
      - .offset:         54
        .size:           2
        .value_kind:     hidden_remainder_z
      - .offset:         72
        .size:           8
        .value_kind:     hidden_global_offset_x
      - .offset:         80
        .size:           8
        .value_kind:     hidden_global_offset_y
      - .offset:         88
        .size:           8
        .value_kind:     hidden_global_offset_z
      - .offset:         96
        .size:           2
        .value_kind:     hidden_grid_dims
    .group_segment_fixed_size: 0
    .kernarg_segment_align: 8
    .kernarg_segment_size: 288
    .language:       OpenCL C
    .language_version:
      - 2
      - 0
    .max_flat_workgroup_size: 256
    .name:           _ZN7rocprim6detail16transform_kernelINS0_24wrapped_transform_configINS_14default_configEjEEjPjS5_NS_8identityIjEEEEvT1_mT2_T3_
    .private_segment_fixed_size: 0
    .sgpr_count:     24
    .sgpr_spill_count: 0
    .symbol:         _ZN7rocprim6detail16transform_kernelINS0_24wrapped_transform_configINS_14default_configEjEEjPjS5_NS_8identityIjEEEEvT1_mT2_T3_.kd
    .uniform_work_group_size: 1
    .uses_dynamic_stack: false
    .vgpr_count:     28
    .vgpr_spill_count: 0
    .wavefront_size: 32
    .workgroup_processor_mode: 1
  - .args:
      - .address_space:  global
        .offset:         0
        .size:           8
        .value_kind:     global_buffer
      - .offset:         8
        .size:           8
        .value_kind:     by_value
      - .offset:         16
        .size:           4
        .value_kind:     by_value
      - .address_space:  global
        .offset:         24
        .size:           8
        .value_kind:     global_buffer
      - .offset:         32
        .size:           1
        .value_kind:     by_value
    .group_segment_fixed_size: 4224
    .kernarg_segment_align: 8
    .kernarg_segment_size: 36
    .language:       OpenCL C
    .language_version:
      - 2
      - 0
    .max_flat_workgroup_size: 64
    .name:           _ZN7rocprim6detail18single_scan_kernelILb1ENS0_19wrapped_scan_configINS_14default_configEjEEPjS5_N6thrust4plusIvEEjjEEvT1_mT4_T2_T3_
    .private_segment_fixed_size: 0
    .sgpr_count:     26
    .sgpr_spill_count: 0
    .symbol:         _ZN7rocprim6detail18single_scan_kernelILb1ENS0_19wrapped_scan_configINS_14default_configEjEEPjS5_N6thrust4plusIvEEjjEEvT1_mT4_T2_T3_.kd
    .uniform_work_group_size: 1
    .uses_dynamic_stack: false
    .vgpr_count:     43
    .vgpr_spill_count: 0
    .wavefront_size: 32
    .workgroup_processor_mode: 1
  - .args:
      - .offset:         0
        .size:           4
        .value_kind:     by_value
      - .offset:         4
        .size:           4
        .value_kind:     by_value
      - .actual_access:  read_only
        .address_space:  global
        .offset:         8
        .size:           8
        .value_kind:     global_buffer
      - .actual_access:  read_only
        .address_space:  global
        .offset:         16
        .size:           8
        .value_kind:     global_buffer
      - .actual_access:  read_only
        .address_space:  global
        .offset:         24
        .size:           8
        .value_kind:     global_buffer
      - .actual_access:  read_only
        .address_space:  global
        .offset:         32
        .size:           8
        .value_kind:     global_buffer
      - .actual_access:  read_only
        .address_space:  global
        .offset:         40
        .size:           8
        .value_kind:     global_buffer
      - .actual_access:  read_only
        .address_space:  global
        .offset:         48
        .size:           8
        .value_kind:     global_buffer
      - .actual_access:  write_only
        .address_space:  global
        .offset:         56
        .size:           8
        .value_kind:     global_buffer
      - .actual_access:  write_only
        .address_space:  global
        .offset:         64
        .size:           8
        .value_kind:     global_buffer
      - .offset:         72
        .size:           4
        .value_kind:     hidden_block_count_x
      - .offset:         76
        .size:           4
        .value_kind:     hidden_block_count_y
      - .offset:         80
        .size:           4
        .value_kind:     hidden_block_count_z
      - .offset:         84
        .size:           2
        .value_kind:     hidden_group_size_x
      - .offset:         86
        .size:           2
        .value_kind:     hidden_group_size_y
      - .offset:         88
        .size:           2
        .value_kind:     hidden_group_size_z
      - .offset:         90
        .size:           2
        .value_kind:     hidden_remainder_x
      - .offset:         92
        .size:           2
        .value_kind:     hidden_remainder_y
      - .offset:         94
        .size:           2
        .value_kind:     hidden_remainder_z
      - .offset:         112
        .size:           8
        .value_kind:     hidden_global_offset_x
      - .offset:         120
        .size:           8
        .value_kind:     hidden_global_offset_y
      - .offset:         128
        .size:           8
        .value_kind:     hidden_global_offset_z
      - .offset:         136
        .size:           2
        .value_kind:     hidden_grid_dims
    .group_segment_fixed_size: 0
    .kernarg_segment_align: 8
    .kernarg_segment_size: 328
    .language:       OpenCL C
    .language_version:
      - 2
      - 0
    .max_flat_workgroup_size: 1024
    .name:           _Z15fillBlockColEllILi2EEviiPjPKiS2_S2_S2_PKdS0_Pd
    .private_segment_fixed_size: 0
    .sgpr_count:     18
    .sgpr_spill_count: 0
    .symbol:         _Z15fillBlockColEllILi2EEviiPjPKiS2_S2_S2_PKdS0_Pd.kd
    .uniform_work_group_size: 1
    .uses_dynamic_stack: false
    .vgpr_count:     20
    .vgpr_spill_count: 0
    .wavefront_size: 32
    .workgroup_processor_mode: 1
  - .args:
      - .offset:         0
        .size:           4
        .value_kind:     by_value
      - .offset:         4
        .size:           4
        .value_kind:     by_value
      - .actual_access:  read_only
        .address_space:  global
        .offset:         8
        .size:           8
        .value_kind:     global_buffer
      - .actual_access:  read_only
        .address_space:  global
        .offset:         16
        .size:           8
        .value_kind:     global_buffer
      - .actual_access:  read_only
        .address_space:  global
        .offset:         24
        .size:           8
        .value_kind:     global_buffer
      - .actual_access:  read_only
        .address_space:  global
        .offset:         32
        .size:           8
        .value_kind:     global_buffer
      - .actual_access:  read_only
        .address_space:  global
        .offset:         40
        .size:           8
        .value_kind:     global_buffer
      - .actual_access:  read_only
        .address_space:  global
        .offset:         48
        .size:           8
        .value_kind:     global_buffer
      - .actual_access:  write_only
        .address_space:  global
        .offset:         56
        .size:           8
        .value_kind:     global_buffer
      - .actual_access:  write_only
        .address_space:  global
        .offset:         64
        .size:           8
        .value_kind:     global_buffer
      - .offset:         72
        .size:           4
        .value_kind:     hidden_block_count_x
      - .offset:         76
        .size:           4
        .value_kind:     hidden_block_count_y
      - .offset:         80
        .size:           4
        .value_kind:     hidden_block_count_z
      - .offset:         84
        .size:           2
        .value_kind:     hidden_group_size_x
      - .offset:         86
        .size:           2
        .value_kind:     hidden_group_size_y
      - .offset:         88
        .size:           2
        .value_kind:     hidden_group_size_z
      - .offset:         90
        .size:           2
        .value_kind:     hidden_remainder_x
      - .offset:         92
        .size:           2
        .value_kind:     hidden_remainder_y
      - .offset:         94
        .size:           2
        .value_kind:     hidden_remainder_z
      - .offset:         112
        .size:           8
        .value_kind:     hidden_global_offset_x
      - .offset:         120
        .size:           8
        .value_kind:     hidden_global_offset_y
      - .offset:         128
        .size:           8
        .value_kind:     hidden_global_offset_z
      - .offset:         136
        .size:           2
        .value_kind:     hidden_grid_dims
    .group_segment_fixed_size: 0
    .kernarg_segment_align: 8
    .kernarg_segment_size: 328
    .language:       OpenCL C
    .language_version:
      - 2
      - 0
    .max_flat_workgroup_size: 1024
    .name:           _Z15fillBlockColEllILi4EEviiPjPKiS2_S2_S2_PKdS0_Pd
    .private_segment_fixed_size: 0
    .sgpr_count:     18
    .sgpr_spill_count: 0
    .symbol:         _Z15fillBlockColEllILi4EEviiPjPKiS2_S2_S2_PKdS0_Pd.kd
    .uniform_work_group_size: 1
    .uses_dynamic_stack: false
    .vgpr_count:     20
    .vgpr_spill_count: 0
    .wavefront_size: 32
    .workgroup_processor_mode: 1
  - .args:
      - .offset:         0
        .size:           4
        .value_kind:     by_value
      - .offset:         4
        .size:           4
        .value_kind:     by_value
      - .actual_access:  read_only
        .address_space:  global
        .offset:         8
        .size:           8
        .value_kind:     global_buffer
      - .actual_access:  read_only
        .address_space:  global
        .offset:         16
        .size:           8
        .value_kind:     global_buffer
      - .actual_access:  read_only
        .address_space:  global
        .offset:         24
        .size:           8
        .value_kind:     global_buffer
      - .actual_access:  read_only
        .address_space:  global
        .offset:         32
        .size:           8
        .value_kind:     global_buffer
      - .actual_access:  read_only
        .address_space:  global
        .offset:         40
        .size:           8
        .value_kind:     global_buffer
      - .actual_access:  read_only
        .address_space:  global
        .offset:         48
        .size:           8
        .value_kind:     global_buffer
      - .actual_access:  write_only
        .address_space:  global
        .offset:         56
        .size:           8
        .value_kind:     global_buffer
      - .actual_access:  write_only
        .address_space:  global
        .offset:         64
        .size:           8
        .value_kind:     global_buffer
      - .offset:         72
        .size:           4
        .value_kind:     hidden_block_count_x
      - .offset:         76
        .size:           4
        .value_kind:     hidden_block_count_y
      - .offset:         80
        .size:           4
        .value_kind:     hidden_block_count_z
      - .offset:         84
        .size:           2
        .value_kind:     hidden_group_size_x
      - .offset:         86
        .size:           2
        .value_kind:     hidden_group_size_y
      - .offset:         88
        .size:           2
        .value_kind:     hidden_group_size_z
      - .offset:         90
        .size:           2
        .value_kind:     hidden_remainder_x
      - .offset:         92
        .size:           2
        .value_kind:     hidden_remainder_y
      - .offset:         94
        .size:           2
        .value_kind:     hidden_remainder_z
      - .offset:         112
        .size:           8
        .value_kind:     hidden_global_offset_x
      - .offset:         120
        .size:           8
        .value_kind:     hidden_global_offset_y
      - .offset:         128
        .size:           8
        .value_kind:     hidden_global_offset_z
      - .offset:         136
        .size:           2
        .value_kind:     hidden_grid_dims
    .group_segment_fixed_size: 0
    .kernarg_segment_align: 8
    .kernarg_segment_size: 328
    .language:       OpenCL C
    .language_version:
      - 2
      - 0
    .max_flat_workgroup_size: 1024
    .name:           _Z15fillBlockColEllILi8EEviiPjPKiS2_S2_S2_PKdS0_Pd
    .private_segment_fixed_size: 0
    .sgpr_count:     18
    .sgpr_spill_count: 0
    .symbol:         _Z15fillBlockColEllILi8EEviiPjPKiS2_S2_S2_PKdS0_Pd.kd
    .uniform_work_group_size: 1
    .uses_dynamic_stack: false
    .vgpr_count:     20
    .vgpr_spill_count: 0
    .wavefront_size: 32
    .workgroup_processor_mode: 1
  - .args:
      - .offset:         0
        .size:           4
        .value_kind:     by_value
      - .offset:         4
        .size:           4
        .value_kind:     by_value
      - .actual_access:  read_only
        .address_space:  global
        .offset:         8
        .size:           8
        .value_kind:     global_buffer
      - .actual_access:  read_only
        .address_space:  global
        .offset:         16
        .size:           8
        .value_kind:     global_buffer
      - .actual_access:  read_only
        .address_space:  global
        .offset:         24
        .size:           8
        .value_kind:     global_buffer
      - .actual_access:  read_only
        .address_space:  global
        .offset:         32
        .size:           8
        .value_kind:     global_buffer
      - .actual_access:  read_only
        .address_space:  global
        .offset:         40
        .size:           8
        .value_kind:     global_buffer
      - .actual_access:  read_only
        .address_space:  global
        .offset:         48
        .size:           8
        .value_kind:     global_buffer
      - .actual_access:  write_only
        .address_space:  global
        .offset:         56
        .size:           8
        .value_kind:     global_buffer
      - .actual_access:  write_only
        .address_space:  global
        .offset:         64
        .size:           8
        .value_kind:     global_buffer
      - .offset:         72
        .size:           4
        .value_kind:     hidden_block_count_x
      - .offset:         76
        .size:           4
        .value_kind:     hidden_block_count_y
      - .offset:         80
        .size:           4
        .value_kind:     hidden_block_count_z
      - .offset:         84
        .size:           2
        .value_kind:     hidden_group_size_x
      - .offset:         86
        .size:           2
        .value_kind:     hidden_group_size_y
      - .offset:         88
        .size:           2
        .value_kind:     hidden_group_size_z
      - .offset:         90
        .size:           2
        .value_kind:     hidden_remainder_x
      - .offset:         92
        .size:           2
        .value_kind:     hidden_remainder_y
      - .offset:         94
        .size:           2
        .value_kind:     hidden_remainder_z
      - .offset:         112
        .size:           8
        .value_kind:     hidden_global_offset_x
      - .offset:         120
        .size:           8
        .value_kind:     hidden_global_offset_y
      - .offset:         128
        .size:           8
        .value_kind:     hidden_global_offset_z
      - .offset:         136
        .size:           2
        .value_kind:     hidden_grid_dims
    .group_segment_fixed_size: 0
    .kernarg_segment_align: 8
    .kernarg_segment_size: 328
    .language:       OpenCL C
    .language_version:
      - 2
      - 0
    .max_flat_workgroup_size: 1024
    .name:           _Z15fillBlockColEllILi16EEviiPjPKiS2_S2_S2_PKdS0_Pd
    .private_segment_fixed_size: 0
    .sgpr_count:     18
    .sgpr_spill_count: 0
    .symbol:         _Z15fillBlockColEllILi16EEviiPjPKiS2_S2_S2_PKdS0_Pd.kd
    .uniform_work_group_size: 1
    .uses_dynamic_stack: false
    .vgpr_count:     20
    .vgpr_spill_count: 0
    .wavefront_size: 32
    .workgroup_processor_mode: 1
  - .args:
      - .offset:         0
        .size:           4
        .value_kind:     by_value
      - .offset:         4
        .size:           4
        .value_kind:     by_value
      - .actual_access:  read_only
        .address_space:  global
        .offset:         8
        .size:           8
        .value_kind:     global_buffer
      - .actual_access:  read_only
        .address_space:  global
        .offset:         16
        .size:           8
        .value_kind:     global_buffer
      - .actual_access:  read_only
        .address_space:  global
        .offset:         24
        .size:           8
        .value_kind:     global_buffer
      - .actual_access:  read_only
        .address_space:  global
        .offset:         32
        .size:           8
        .value_kind:     global_buffer
      - .actual_access:  read_only
        .address_space:  global
        .offset:         40
        .size:           8
        .value_kind:     global_buffer
      - .actual_access:  read_only
        .address_space:  global
        .offset:         48
        .size:           8
        .value_kind:     global_buffer
      - .actual_access:  write_only
        .address_space:  global
        .offset:         56
        .size:           8
        .value_kind:     global_buffer
      - .actual_access:  write_only
        .address_space:  global
        .offset:         64
        .size:           8
        .value_kind:     global_buffer
      - .offset:         72
        .size:           4
        .value_kind:     hidden_block_count_x
      - .offset:         76
        .size:           4
        .value_kind:     hidden_block_count_y
      - .offset:         80
        .size:           4
        .value_kind:     hidden_block_count_z
      - .offset:         84
        .size:           2
        .value_kind:     hidden_group_size_x
      - .offset:         86
        .size:           2
        .value_kind:     hidden_group_size_y
      - .offset:         88
        .size:           2
        .value_kind:     hidden_group_size_z
      - .offset:         90
        .size:           2
        .value_kind:     hidden_remainder_x
      - .offset:         92
        .size:           2
        .value_kind:     hidden_remainder_y
      - .offset:         94
        .size:           2
        .value_kind:     hidden_remainder_z
      - .offset:         112
        .size:           8
        .value_kind:     hidden_global_offset_x
      - .offset:         120
        .size:           8
        .value_kind:     hidden_global_offset_y
      - .offset:         128
        .size:           8
        .value_kind:     hidden_global_offset_z
      - .offset:         136
        .size:           2
        .value_kind:     hidden_grid_dims
    .group_segment_fixed_size: 0
    .kernarg_segment_align: 8
    .kernarg_segment_size: 328
    .language:       OpenCL C
    .language_version:
      - 2
      - 0
    .max_flat_workgroup_size: 1024
    .name:           _Z15fillBlockColEllILi32EEviiPjPKiS2_S2_S2_PKdS0_Pd
    .private_segment_fixed_size: 0
    .sgpr_count:     18
    .sgpr_spill_count: 0
    .symbol:         _Z15fillBlockColEllILi32EEviiPjPKiS2_S2_S2_PKdS0_Pd.kd
    .uniform_work_group_size: 1
    .uses_dynamic_stack: false
    .vgpr_count:     20
    .vgpr_spill_count: 0
    .wavefront_size: 32
    .workgroup_processor_mode: 1
  - .args:
      - .offset:         0
        .size:           4
        .value_kind:     by_value
      - .offset:         4
        .size:           4
        .value_kind:     by_value
      - .actual_access:  read_only
        .address_space:  global
        .offset:         8
        .size:           8
        .value_kind:     global_buffer
      - .actual_access:  read_only
        .address_space:  global
        .offset:         16
        .size:           8
        .value_kind:     global_buffer
      - .actual_access:  read_only
        .address_space:  global
        .offset:         24
        .size:           8
        .value_kind:     global_buffer
      - .actual_access:  read_only
        .address_space:  global
        .offset:         32
        .size:           8
        .value_kind:     global_buffer
      - .actual_access:  read_only
        .address_space:  global
        .offset:         40
        .size:           8
        .value_kind:     global_buffer
      - .actual_access:  read_only
        .address_space:  global
        .offset:         48
        .size:           8
        .value_kind:     global_buffer
      - .actual_access:  write_only
        .address_space:  global
        .offset:         56
        .size:           8
        .value_kind:     global_buffer
      - .actual_access:  write_only
        .address_space:  global
        .offset:         64
        .size:           8
        .value_kind:     global_buffer
      - .offset:         72
        .size:           4
        .value_kind:     hidden_block_count_x
      - .offset:         76
        .size:           4
        .value_kind:     hidden_block_count_y
      - .offset:         80
        .size:           4
        .value_kind:     hidden_block_count_z
      - .offset:         84
        .size:           2
        .value_kind:     hidden_group_size_x
      - .offset:         86
        .size:           2
        .value_kind:     hidden_group_size_y
      - .offset:         88
        .size:           2
        .value_kind:     hidden_group_size_z
      - .offset:         90
        .size:           2
        .value_kind:     hidden_remainder_x
      - .offset:         92
        .size:           2
        .value_kind:     hidden_remainder_y
      - .offset:         94
        .size:           2
        .value_kind:     hidden_remainder_z
      - .offset:         112
        .size:           8
        .value_kind:     hidden_global_offset_x
      - .offset:         120
        .size:           8
        .value_kind:     hidden_global_offset_y
      - .offset:         128
        .size:           8
        .value_kind:     hidden_global_offset_z
      - .offset:         136
        .size:           2
        .value_kind:     hidden_grid_dims
    .group_segment_fixed_size: 0
    .kernarg_segment_align: 8
    .kernarg_segment_size: 328
    .language:       OpenCL C
    .language_version:
      - 2
      - 0
    .max_flat_workgroup_size: 1024
    .name:           _Z15fillBlockColEllILi64EEviiPjPKiS2_S2_S2_PKdS0_Pd
    .private_segment_fixed_size: 0
    .sgpr_count:     18
    .sgpr_spill_count: 0
    .symbol:         _Z15fillBlockColEllILi64EEviiPjPKiS2_S2_S2_PKdS0_Pd.kd
    .uniform_work_group_size: 1
    .uses_dynamic_stack: false
    .vgpr_count:     20
    .vgpr_spill_count: 0
    .wavefront_size: 32
    .workgroup_processor_mode: 1
  - .args:
      - .offset:         0
        .size:           4
        .value_kind:     by_value
      - .offset:         4
        .size:           4
        .value_kind:     by_value
      - .actual_access:  read_only
        .address_space:  global
        .offset:         8
        .size:           8
        .value_kind:     global_buffer
      - .actual_access:  read_only
        .address_space:  global
        .offset:         16
        .size:           8
        .value_kind:     global_buffer
      - .actual_access:  read_only
        .address_space:  global
        .offset:         24
        .size:           8
        .value_kind:     global_buffer
      - .actual_access:  read_only
        .address_space:  global
        .offset:         32
        .size:           8
        .value_kind:     global_buffer
      - .address_space:  global
        .offset:         40
        .size:           8
        .value_kind:     global_buffer
      - .offset:         48
        .size:           8
        .value_kind:     by_value
      - .offset:         56
        .size:           8
        .value_kind:     by_value
      - .offset:         64
        .size:           4
        .value_kind:     hidden_block_count_x
      - .offset:         68
        .size:           4
        .value_kind:     hidden_block_count_y
      - .offset:         72
        .size:           4
        .value_kind:     hidden_block_count_z
      - .offset:         76
        .size:           2
        .value_kind:     hidden_group_size_x
      - .offset:         78
        .size:           2
        .value_kind:     hidden_group_size_y
      - .offset:         80
        .size:           2
        .value_kind:     hidden_group_size_z
      - .offset:         82
        .size:           2
        .value_kind:     hidden_remainder_x
      - .offset:         84
        .size:           2
        .value_kind:     hidden_remainder_y
      - .offset:         86
        .size:           2
        .value_kind:     hidden_remainder_z
      - .offset:         104
        .size:           8
        .value_kind:     hidden_global_offset_x
      - .offset:         112
        .size:           8
        .value_kind:     hidden_global_offset_y
      - .offset:         120
        .size:           8
        .value_kind:     hidden_global_offset_z
      - .offset:         128
        .size:           2
        .value_kind:     hidden_grid_dims
    .group_segment_fixed_size: 0
    .kernarg_segment_align: 8
    .kernarg_segment_size: 320
    .language:       OpenCL C
    .language_version:
      - 2
      - 0
    .max_flat_workgroup_size: 1024
    .name:           _Z22blocked_ellpack_kernelILi5EEvjjPKjS1_PKdS3_Pddd
    .private_segment_fixed_size: 0
    .sgpr_count:     18
    .sgpr_spill_count: 0
    .symbol:         _Z22blocked_ellpack_kernelILi5EEvjjPKjS1_PKdS3_Pddd.kd
    .uniform_work_group_size: 1
    .uses_dynamic_stack: false
    .vgpr_count:     16
    .vgpr_spill_count: 0
    .wavefront_size: 32
    .workgroup_processor_mode: 1
  - .args:
      - .offset:         0
        .size:           4
        .value_kind:     by_value
      - .offset:         4
        .size:           4
        .value_kind:     by_value
      - .actual_access:  read_only
        .address_space:  global
        .offset:         8
        .size:           8
        .value_kind:     global_buffer
      - .actual_access:  read_only
        .address_space:  global
        .offset:         16
        .size:           8
        .value_kind:     global_buffer
      - .actual_access:  read_only
        .address_space:  global
        .offset:         24
        .size:           8
        .value_kind:     global_buffer
      - .actual_access:  read_only
        .address_space:  global
        .offset:         32
        .size:           8
        .value_kind:     global_buffer
      - .address_space:  global
        .offset:         40
        .size:           8
        .value_kind:     global_buffer
      - .offset:         48
        .size:           8
        .value_kind:     by_value
      - .offset:         56
        .size:           8
        .value_kind:     by_value
      - .offset:         64
        .size:           4
        .value_kind:     hidden_block_count_x
      - .offset:         68
        .size:           4
        .value_kind:     hidden_block_count_y
      - .offset:         72
        .size:           4
        .value_kind:     hidden_block_count_z
      - .offset:         76
        .size:           2
        .value_kind:     hidden_group_size_x
      - .offset:         78
        .size:           2
        .value_kind:     hidden_group_size_y
      - .offset:         80
        .size:           2
        .value_kind:     hidden_group_size_z
      - .offset:         82
        .size:           2
        .value_kind:     hidden_remainder_x
      - .offset:         84
        .size:           2
        .value_kind:     hidden_remainder_y
      - .offset:         86
        .size:           2
        .value_kind:     hidden_remainder_z
      - .offset:         104
        .size:           8
        .value_kind:     hidden_global_offset_x
      - .offset:         112
        .size:           8
        .value_kind:     hidden_global_offset_y
      - .offset:         120
        .size:           8
        .value_kind:     hidden_global_offset_z
      - .offset:         128
        .size:           2
        .value_kind:     hidden_grid_dims
    .group_segment_fixed_size: 0
    .kernarg_segment_align: 8
    .kernarg_segment_size: 320
    .language:       OpenCL C
    .language_version:
      - 2
      - 0
    .max_flat_workgroup_size: 1024
    .name:           _Z22blocked_ellpack_kernelILi6EEvjjPKjS1_PKdS3_Pddd
    .private_segment_fixed_size: 0
    .sgpr_count:     18
    .sgpr_spill_count: 0
    .symbol:         _Z22blocked_ellpack_kernelILi6EEvjjPKjS1_PKdS3_Pddd.kd
    .uniform_work_group_size: 1
    .uses_dynamic_stack: false
    .vgpr_count:     16
    .vgpr_spill_count: 0
    .wavefront_size: 32
    .workgroup_processor_mode: 1
amdhsa.target:   amdgcn-amd-amdhsa--gfx1100
amdhsa.version:
  - 1
  - 2
...

	.end_amdgpu_metadata
